;; amdgpu-corpus repo=ROCm/rocFFT kind=compiled arch=gfx1030 opt=O3
	.text
	.amdgcn_target "amdgcn-amd-amdhsa--gfx1030"
	.amdhsa_code_object_version 6
	.protected	fft_rtc_back_len3600_factors_10_10_6_6_wgs_120_tpt_120_halfLds_dp_ip_CI_unitstride_sbrr_C2R_dirReg ; -- Begin function fft_rtc_back_len3600_factors_10_10_6_6_wgs_120_tpt_120_halfLds_dp_ip_CI_unitstride_sbrr_C2R_dirReg
	.globl	fft_rtc_back_len3600_factors_10_10_6_6_wgs_120_tpt_120_halfLds_dp_ip_CI_unitstride_sbrr_C2R_dirReg
	.p2align	8
	.type	fft_rtc_back_len3600_factors_10_10_6_6_wgs_120_tpt_120_halfLds_dp_ip_CI_unitstride_sbrr_C2R_dirReg,@function
fft_rtc_back_len3600_factors_10_10_6_6_wgs_120_tpt_120_halfLds_dp_ip_CI_unitstride_sbrr_C2R_dirReg: ; @fft_rtc_back_len3600_factors_10_10_6_6_wgs_120_tpt_120_halfLds_dp_ip_CI_unitstride_sbrr_C2R_dirReg
; %bb.0:
	s_clause 0x2
	s_load_dwordx4 s[8:11], s[4:5], 0x0
	s_load_dwordx2 s[2:3], s[4:5], 0x50
	s_load_dwordx2 s[12:13], s[4:5], 0x18
	v_mul_u32_u24_e32 v1, 0x223, v0
	v_mov_b32_e32 v3, 0
	v_add_nc_u32_sdwa v5, s6, v1 dst_sel:DWORD dst_unused:UNUSED_PAD src0_sel:DWORD src1_sel:WORD_1
	v_mov_b32_e32 v1, 0
	v_mov_b32_e32 v6, v3
	v_mov_b32_e32 v2, 0
	s_waitcnt lgkmcnt(0)
	v_cmp_lt_u64_e64 s0, s[10:11], 2
	s_and_b32 vcc_lo, exec_lo, s0
	s_cbranch_vccnz .LBB0_8
; %bb.1:
	s_load_dwordx2 s[0:1], s[4:5], 0x10
	v_mov_b32_e32 v1, 0
	s_add_u32 s6, s12, 8
	v_mov_b32_e32 v2, 0
	s_addc_u32 s7, s13, 0
	s_mov_b64 s[16:17], 1
	s_waitcnt lgkmcnt(0)
	s_add_u32 s14, s0, 8
	s_addc_u32 s15, s1, 0
.LBB0_2:                                ; =>This Inner Loop Header: Depth=1
	s_load_dwordx2 s[18:19], s[14:15], 0x0
                                        ; implicit-def: $vgpr7_vgpr8
	s_mov_b32 s0, exec_lo
	s_waitcnt lgkmcnt(0)
	v_or_b32_e32 v4, s19, v6
	v_cmpx_ne_u64_e32 0, v[3:4]
	s_xor_b32 s1, exec_lo, s0
	s_cbranch_execz .LBB0_4
; %bb.3:                                ;   in Loop: Header=BB0_2 Depth=1
	v_cvt_f32_u32_e32 v4, s18
	v_cvt_f32_u32_e32 v7, s19
	s_sub_u32 s0, 0, s18
	s_subb_u32 s20, 0, s19
	v_fmac_f32_e32 v4, 0x4f800000, v7
	v_rcp_f32_e32 v4, v4
	v_mul_f32_e32 v4, 0x5f7ffffc, v4
	v_mul_f32_e32 v7, 0x2f800000, v4
	v_trunc_f32_e32 v7, v7
	v_fmac_f32_e32 v4, 0xcf800000, v7
	v_cvt_u32_f32_e32 v7, v7
	v_cvt_u32_f32_e32 v4, v4
	v_mul_lo_u32 v8, s0, v7
	v_mul_hi_u32 v9, s0, v4
	v_mul_lo_u32 v10, s20, v4
	v_add_nc_u32_e32 v8, v9, v8
	v_mul_lo_u32 v9, s0, v4
	v_add_nc_u32_e32 v8, v8, v10
	v_mul_hi_u32 v10, v4, v9
	v_mul_lo_u32 v11, v4, v8
	v_mul_hi_u32 v12, v4, v8
	v_mul_hi_u32 v13, v7, v9
	v_mul_lo_u32 v9, v7, v9
	v_mul_hi_u32 v14, v7, v8
	v_mul_lo_u32 v8, v7, v8
	v_add_co_u32 v10, vcc_lo, v10, v11
	v_add_co_ci_u32_e32 v11, vcc_lo, 0, v12, vcc_lo
	v_add_co_u32 v9, vcc_lo, v10, v9
	v_add_co_ci_u32_e32 v9, vcc_lo, v11, v13, vcc_lo
	v_add_co_ci_u32_e32 v10, vcc_lo, 0, v14, vcc_lo
	v_add_co_u32 v8, vcc_lo, v9, v8
	v_add_co_ci_u32_e32 v9, vcc_lo, 0, v10, vcc_lo
	v_add_co_u32 v4, vcc_lo, v4, v8
	v_add_co_ci_u32_e32 v7, vcc_lo, v7, v9, vcc_lo
	v_mul_hi_u32 v8, s0, v4
	v_mul_lo_u32 v10, s20, v4
	v_mul_lo_u32 v9, s0, v7
	v_add_nc_u32_e32 v8, v8, v9
	v_mul_lo_u32 v9, s0, v4
	v_add_nc_u32_e32 v8, v8, v10
	v_mul_hi_u32 v10, v4, v9
	v_mul_lo_u32 v11, v4, v8
	v_mul_hi_u32 v12, v4, v8
	v_mul_hi_u32 v13, v7, v9
	v_mul_lo_u32 v9, v7, v9
	v_mul_hi_u32 v14, v7, v8
	v_mul_lo_u32 v8, v7, v8
	v_add_co_u32 v10, vcc_lo, v10, v11
	v_add_co_ci_u32_e32 v11, vcc_lo, 0, v12, vcc_lo
	v_add_co_u32 v9, vcc_lo, v10, v9
	v_add_co_ci_u32_e32 v9, vcc_lo, v11, v13, vcc_lo
	v_add_co_ci_u32_e32 v10, vcc_lo, 0, v14, vcc_lo
	v_add_co_u32 v8, vcc_lo, v9, v8
	v_add_co_ci_u32_e32 v9, vcc_lo, 0, v10, vcc_lo
	v_add_co_u32 v4, vcc_lo, v4, v8
	v_add_co_ci_u32_e32 v11, vcc_lo, v7, v9, vcc_lo
	v_mul_hi_u32 v13, v5, v4
	v_mad_u64_u32 v[9:10], null, v6, v4, 0
	v_mad_u64_u32 v[7:8], null, v5, v11, 0
	;; [unrolled: 1-line block ×3, first 2 shown]
	v_add_co_u32 v4, vcc_lo, v13, v7
	v_add_co_ci_u32_e32 v7, vcc_lo, 0, v8, vcc_lo
	v_add_co_u32 v4, vcc_lo, v4, v9
	v_add_co_ci_u32_e32 v4, vcc_lo, v7, v10, vcc_lo
	v_add_co_ci_u32_e32 v7, vcc_lo, 0, v12, vcc_lo
	v_add_co_u32 v4, vcc_lo, v4, v11
	v_add_co_ci_u32_e32 v9, vcc_lo, 0, v7, vcc_lo
	v_mul_lo_u32 v10, s19, v4
	v_mad_u64_u32 v[7:8], null, s18, v4, 0
	v_mul_lo_u32 v11, s18, v9
	v_sub_co_u32 v7, vcc_lo, v5, v7
	v_add3_u32 v8, v8, v11, v10
	v_sub_nc_u32_e32 v10, v6, v8
	v_subrev_co_ci_u32_e64 v10, s0, s19, v10, vcc_lo
	v_add_co_u32 v11, s0, v4, 2
	v_add_co_ci_u32_e64 v12, s0, 0, v9, s0
	v_sub_co_u32 v13, s0, v7, s18
	v_sub_co_ci_u32_e32 v8, vcc_lo, v6, v8, vcc_lo
	v_subrev_co_ci_u32_e64 v10, s0, 0, v10, s0
	v_cmp_le_u32_e32 vcc_lo, s18, v13
	v_cmp_eq_u32_e64 s0, s19, v8
	v_cndmask_b32_e64 v13, 0, -1, vcc_lo
	v_cmp_le_u32_e32 vcc_lo, s19, v10
	v_cndmask_b32_e64 v14, 0, -1, vcc_lo
	v_cmp_le_u32_e32 vcc_lo, s18, v7
	;; [unrolled: 2-line block ×3, first 2 shown]
	v_cndmask_b32_e64 v15, 0, -1, vcc_lo
	v_cmp_eq_u32_e32 vcc_lo, s19, v10
	v_cndmask_b32_e64 v7, v15, v7, s0
	v_cndmask_b32_e32 v10, v14, v13, vcc_lo
	v_add_co_u32 v13, vcc_lo, v4, 1
	v_add_co_ci_u32_e32 v14, vcc_lo, 0, v9, vcc_lo
	v_cmp_ne_u32_e32 vcc_lo, 0, v10
	v_cndmask_b32_e32 v8, v14, v12, vcc_lo
	v_cndmask_b32_e32 v10, v13, v11, vcc_lo
	v_cmp_ne_u32_e32 vcc_lo, 0, v7
	v_cndmask_b32_e32 v8, v9, v8, vcc_lo
	v_cndmask_b32_e32 v7, v4, v10, vcc_lo
.LBB0_4:                                ;   in Loop: Header=BB0_2 Depth=1
	s_andn2_saveexec_b32 s0, s1
	s_cbranch_execz .LBB0_6
; %bb.5:                                ;   in Loop: Header=BB0_2 Depth=1
	v_cvt_f32_u32_e32 v4, s18
	s_sub_i32 s1, 0, s18
	v_rcp_iflag_f32_e32 v4, v4
	v_mul_f32_e32 v4, 0x4f7ffffe, v4
	v_cvt_u32_f32_e32 v4, v4
	v_mul_lo_u32 v7, s1, v4
	v_mul_hi_u32 v7, v4, v7
	v_add_nc_u32_e32 v4, v4, v7
	v_mul_hi_u32 v4, v5, v4
	v_mul_lo_u32 v7, v4, s18
	v_add_nc_u32_e32 v8, 1, v4
	v_sub_nc_u32_e32 v7, v5, v7
	v_subrev_nc_u32_e32 v9, s18, v7
	v_cmp_le_u32_e32 vcc_lo, s18, v7
	v_cndmask_b32_e32 v7, v7, v9, vcc_lo
	v_cndmask_b32_e32 v4, v4, v8, vcc_lo
	v_cmp_le_u32_e32 vcc_lo, s18, v7
	v_add_nc_u32_e32 v8, 1, v4
	v_cndmask_b32_e32 v7, v4, v8, vcc_lo
	v_mov_b32_e32 v8, v3
.LBB0_6:                                ;   in Loop: Header=BB0_2 Depth=1
	s_or_b32 exec_lo, exec_lo, s0
	s_load_dwordx2 s[0:1], s[6:7], 0x0
	v_mul_lo_u32 v4, v8, s18
	v_mul_lo_u32 v11, v7, s19
	v_mad_u64_u32 v[9:10], null, v7, s18, 0
	s_add_u32 s16, s16, 1
	s_addc_u32 s17, s17, 0
	s_add_u32 s6, s6, 8
	s_addc_u32 s7, s7, 0
	;; [unrolled: 2-line block ×3, first 2 shown]
	v_add3_u32 v4, v10, v11, v4
	v_sub_co_u32 v5, vcc_lo, v5, v9
	v_sub_co_ci_u32_e32 v4, vcc_lo, v6, v4, vcc_lo
	s_waitcnt lgkmcnt(0)
	v_mul_lo_u32 v6, s1, v5
	v_mul_lo_u32 v4, s0, v4
	v_mad_u64_u32 v[1:2], null, s0, v5, v[1:2]
	v_cmp_ge_u64_e64 s0, s[16:17], s[10:11]
	s_and_b32 vcc_lo, exec_lo, s0
	v_add3_u32 v2, v6, v2, v4
	s_cbranch_vccnz .LBB0_9
; %bb.7:                                ;   in Loop: Header=BB0_2 Depth=1
	v_mov_b32_e32 v5, v7
	v_mov_b32_e32 v6, v8
	s_branch .LBB0_2
.LBB0_8:
	v_mov_b32_e32 v8, v6
	v_mov_b32_e32 v7, v5
.LBB0_9:
	s_lshl_b64 s[0:1], s[10:11], 3
	v_mul_hi_u32 v5, 0x2222223, v0
	s_add_u32 s0, s12, s0
	s_addc_u32 s1, s13, s1
	s_load_dwordx2 s[0:1], s[0:1], 0x0
	s_load_dwordx2 s[4:5], s[4:5], 0x20
	s_waitcnt lgkmcnt(0)
	v_mul_lo_u32 v3, s0, v8
	v_mul_lo_u32 v4, s1, v7
	v_mad_u64_u32 v[1:2], null, s0, v7, v[1:2]
	v_cmp_gt_u64_e32 vcc_lo, s[4:5], v[7:8]
	v_add3_u32 v2, v4, v2, v3
	v_mul_u32_u24_e32 v3, 0x78, v5
	v_lshlrev_b64 v[220:221], 4, v[1:2]
	v_sub_nc_u32_e32 v218, v0, v3
	s_and_saveexec_b32 s1, vcc_lo
	s_cbranch_execz .LBB0_13
; %bb.10:
	v_mov_b32_e32 v219, 0
	v_add_co_u32 v0, s0, s2, v220
	v_add_co_ci_u32_e64 v1, s0, s3, v221, s0
	v_lshlrev_b64 v[2:3], 4, v[218:219]
	v_or_b32_e32 v28, 0x780, v218
	v_mov_b32_e32 v29, v219
	v_lshl_add_u32 v122, v218, 4, 0
	v_add_co_u32 v66, s0, v0, v2
	v_add_co_ci_u32_e64 v67, s0, v1, v3, s0
	v_lshlrev_b64 v[58:59], 4, v[28:29]
	v_add_co_u32 v10, s0, 0x800, v66
	v_add_co_ci_u32_e64 v11, s0, 0, v67, s0
	v_add_co_u32 v14, s0, 0x1000, v66
	v_add_co_ci_u32_e64 v15, s0, 0, v67, s0
	;; [unrolled: 2-line block ×28, first 2 shown]
	s_clause 0x1d
	global_load_dwordx4 v[2:5], v[66:67], off
	global_load_dwordx4 v[6:9], v[66:67], off offset:1920
	global_load_dwordx4 v[10:13], v[10:11], off offset:1792
	global_load_dwordx4 v[14:17], v[14:15], off offset:1664
	global_load_dwordx4 v[18:21], v[18:19], off offset:1536
	global_load_dwordx4 v[22:25], v[22:23], off offset:1408
	global_load_dwordx4 v[26:29], v[26:27], off offset:1280
	global_load_dwordx4 v[30:33], v[30:31], off offset:1152
	global_load_dwordx4 v[34:37], v[34:35], off offset:1024
	global_load_dwordx4 v[38:41], v[38:39], off offset:896
	global_load_dwordx4 v[42:45], v[42:43], off offset:768
	global_load_dwordx4 v[46:49], v[46:47], off offset:640
	global_load_dwordx4 v[50:53], v[50:51], off offset:512
	global_load_dwordx4 v[54:57], v[54:55], off offset:384
	global_load_dwordx4 v[58:61], v[60:61], off offset:256
	global_load_dwordx4 v[62:65], v[62:63], off offset:128
	global_load_dwordx4 v[66:69], v[68:69], off
	global_load_dwordx4 v[70:73], v[70:71], off offset:1920
	global_load_dwordx4 v[74:77], v[74:75], off offset:1792
	;; [unrolled: 1-line block ×13, first 2 shown]
	v_cmp_eq_u32_e64 s0, 0x77, v218
	s_waitcnt vmcnt(29)
	ds_write_b128 v122, v[2:5]
	s_waitcnt vmcnt(28)
	ds_write_b128 v122, v[6:9] offset:1920
	s_waitcnt vmcnt(27)
	ds_write_b128 v122, v[10:13] offset:3840
	;; [unrolled: 2-line block ×29, first 2 shown]
	s_and_saveexec_b32 s4, s0
	s_cbranch_execz .LBB0_12
; %bb.11:
	v_add_co_u32 v0, s0, 0xe000, v0
	v_add_co_ci_u32_e64 v1, s0, 0, v1, s0
	v_mov_b32_e32 v218, 0x77
	global_load_dwordx4 v[0:3], v[0:1], off offset:256
	s_waitcnt vmcnt(0)
	ds_write_b128 v219, v[0:3] offset:57600
.LBB0_12:
	s_or_b32 exec_lo, exec_lo, s4
.LBB0_13:
	s_or_b32 exec_lo, exec_lo, s1
	v_lshlrev_b32_e32 v0, 4, v218
	s_waitcnt lgkmcnt(0)
	s_barrier
	buffer_gl0_inv
	s_add_u32 s1, s8, 0xe060
	v_add_nc_u32_e32 v224, 0, v0
	v_sub_nc_u32_e32 v14, 0, v0
	s_addc_u32 s4, s9, 0
	s_mov_b32 s5, exec_lo
                                        ; implicit-def: $vgpr4_vgpr5
	ds_read_b64 v[6:7], v224
	ds_read_b64 v[8:9], v14 offset:57600
	s_waitcnt lgkmcnt(0)
	v_add_f64 v[0:1], v[6:7], v[8:9]
	v_add_f64 v[2:3], v[6:7], -v[8:9]
	v_cmpx_ne_u32_e32 0, v218
	s_xor_b32 s5, exec_lo, s5
	s_cbranch_execz .LBB0_15
; %bb.14:
	v_mov_b32_e32 v219, 0
	v_add_f64 v[12:13], v[6:7], v[8:9]
	v_add_f64 v[15:16], v[6:7], -v[8:9]
	v_lshlrev_b64 v[0:1], 4, v[218:219]
	v_add_co_u32 v0, s0, s1, v0
	v_add_co_ci_u32_e64 v1, s0, s4, v1, s0
	global_load_dwordx4 v[2:5], v[0:1], off
	ds_read_b64 v[0:1], v14 offset:57608
	ds_read_b64 v[10:11], v224 offset:8
	s_waitcnt lgkmcnt(0)
	v_add_f64 v[6:7], v[0:1], v[10:11]
	v_add_f64 v[0:1], v[10:11], -v[0:1]
	s_waitcnt vmcnt(0)
	v_fma_f64 v[8:9], v[15:16], v[4:5], v[12:13]
	v_fma_f64 v[10:11], -v[15:16], v[4:5], v[12:13]
	v_fma_f64 v[12:13], v[6:7], v[4:5], -v[0:1]
	v_fma_f64 v[4:5], v[6:7], v[4:5], v[0:1]
	v_fma_f64 v[0:1], -v[6:7], v[2:3], v[8:9]
	v_fma_f64 v[6:7], v[6:7], v[2:3], v[10:11]
	v_fma_f64 v[8:9], v[15:16], v[2:3], v[12:13]
	;; [unrolled: 1-line block ×3, first 2 shown]
	v_mov_b32_e32 v4, v218
	v_mov_b32_e32 v5, v219
	ds_write_b128 v14, v[6:9] offset:57600
.LBB0_15:
	s_andn2_saveexec_b32 s0, s5
	s_cbranch_execz .LBB0_17
; %bb.16:
	v_mov_b32_e32 v12, 0
	ds_read_b128 v[4:7], v12 offset:28800
	s_waitcnt lgkmcnt(0)
	v_add_f64 v[8:9], v[4:5], v[4:5]
	v_mul_f64 v[10:11], v[6:7], -2.0
	v_mov_b32_e32 v4, 0
	v_mov_b32_e32 v5, 0
	ds_write_b128 v12, v[8:11] offset:28800
.LBB0_17:
	s_or_b32 exec_lo, exec_lo, s0
	v_lshlrev_b64 v[4:5], 4, v[4:5]
	ds_write_b128 v224, v[0:3]
	s_mov_b32 s18, 0x134454ff
	s_mov_b32 s19, 0xbfee6f0e
	s_mov_b32 s5, 0x3fee6f0e
	s_mov_b32 s20, 0x4755a5e
	v_add_co_u32 v4, s0, s1, v4
	v_add_co_ci_u32_e64 v5, s0, s4, v5, s0
	s_mov_b32 s4, s18
	v_add_co_u32 v10, s0, 0x800, v4
	global_load_dwordx4 v[6:9], v[4:5], off offset:1920
	v_add_co_ci_u32_e64 v11, s0, 0, v5, s0
	v_add_co_u32 v15, s0, 0x1000, v4
	v_add_co_ci_u32_e64 v16, s0, 0, v5, s0
	global_load_dwordx4 v[10:13], v[10:11], off offset:1792
	v_add_co_u32 v23, s0, 0x1800, v4
	global_load_dwordx4 v[15:18], v[15:16], off offset:1664
	v_add_co_ci_u32_e64 v24, s0, 0, v5, s0
	ds_read_b128 v[0:3], v224 offset:1920
	ds_read_b128 v[19:22], v14 offset:55680
	s_mov_b32 s21, 0xbfe2cf23
	s_mov_b32 s7, 0x3fe2cf23
	global_load_dwordx4 v[23:26], v[23:24], off offset:1536
	s_mov_b32 s6, s20
	s_mov_b32 s10, 0x372fe950
	;; [unrolled: 1-line block ×9, first 2 shown]
	s_waitcnt lgkmcnt(0)
	v_add_f64 v[27:28], v[0:1], v[19:20]
	v_add_f64 v[29:30], v[21:22], v[2:3]
	v_add_f64 v[31:32], v[0:1], -v[19:20]
	v_add_f64 v[0:1], v[2:3], -v[21:22]
	s_waitcnt vmcnt(3)
	v_fma_f64 v[2:3], v[31:32], v[8:9], v[27:28]
	v_fma_f64 v[19:20], v[29:30], v[8:9], v[0:1]
	v_fma_f64 v[21:22], -v[31:32], v[8:9], v[27:28]
	v_fma_f64 v[8:9], v[29:30], v[8:9], -v[0:1]
	v_add_co_u32 v27, s0, 0x2000, v4
	v_add_co_ci_u32_e64 v28, s0, 0, v5, s0
	v_fma_f64 v[0:1], -v[29:30], v[6:7], v[2:3]
	v_fma_f64 v[2:3], v[31:32], v[6:7], v[19:20]
	v_fma_f64 v[19:20], v[29:30], v[6:7], v[21:22]
	;; [unrolled: 1-line block ×3, first 2 shown]
	ds_write_b128 v224, v[0:3] offset:1920
	ds_write_b128 v14, v[19:22] offset:55680
	ds_read_b128 v[0:3], v224 offset:3840
	ds_read_b128 v[6:9], v14 offset:53760
	global_load_dwordx4 v[19:22], v[27:28], off offset:1408
	s_waitcnt lgkmcnt(0)
	v_add_f64 v[27:28], v[0:1], v[6:7]
	v_add_f64 v[29:30], v[8:9], v[2:3]
	v_add_f64 v[31:32], v[0:1], -v[6:7]
	v_add_f64 v[0:1], v[2:3], -v[8:9]
	s_waitcnt vmcnt(3)
	v_fma_f64 v[2:3], v[31:32], v[12:13], v[27:28]
	v_fma_f64 v[6:7], v[29:30], v[12:13], v[0:1]
	v_fma_f64 v[8:9], -v[31:32], v[12:13], v[27:28]
	v_fma_f64 v[12:13], v[29:30], v[12:13], -v[0:1]
	v_fma_f64 v[0:1], -v[29:30], v[10:11], v[2:3]
	v_fma_f64 v[2:3], v[31:32], v[10:11], v[6:7]
	v_fma_f64 v[6:7], v[29:30], v[10:11], v[8:9]
	v_fma_f64 v[8:9], v[31:32], v[10:11], v[12:13]
	v_add_co_u32 v10, s0, 0x2800, v4
	v_add_co_ci_u32_e64 v11, s0, 0, v5, s0
	ds_write_b128 v224, v[0:3] offset:3840
	ds_write_b128 v14, v[6:9] offset:53760
	ds_read_b128 v[0:3], v224 offset:5760
	ds_read_b128 v[6:9], v14 offset:51840
	global_load_dwordx4 v[10:13], v[10:11], off offset:1280
	s_waitcnt lgkmcnt(0)
	v_add_f64 v[27:28], v[0:1], v[6:7]
	v_add_f64 v[29:30], v[8:9], v[2:3]
	v_add_f64 v[31:32], v[0:1], -v[6:7]
	v_add_f64 v[0:1], v[2:3], -v[8:9]
	s_waitcnt vmcnt(3)
	v_fma_f64 v[2:3], v[31:32], v[17:18], v[27:28]
	v_fma_f64 v[6:7], v[29:30], v[17:18], v[0:1]
	v_fma_f64 v[8:9], -v[31:32], v[17:18], v[27:28]
	v_fma_f64 v[17:18], v[29:30], v[17:18], -v[0:1]
	v_fma_f64 v[0:1], -v[29:30], v[15:16], v[2:3]
	v_fma_f64 v[2:3], v[31:32], v[15:16], v[6:7]
	v_fma_f64 v[6:7], v[29:30], v[15:16], v[8:9]
	v_fma_f64 v[8:9], v[31:32], v[15:16], v[17:18]
	v_add_co_u32 v15, s0, 0x3000, v4
	v_add_co_ci_u32_e64 v16, s0, 0, v5, s0
	;; [unrolled: 21-line block ×9, first 2 shown]
	v_cmp_gt_u32_e64 s0, 0x64, v218
	ds_write_b128 v224, v[0:3] offset:19200
	ds_write_b128 v14, v[6:9] offset:38400
	ds_read_b128 v[4:7], v224 offset:21120
	ds_read_b128 v[8:11], v14 offset:36480
	global_load_dwordx4 v[0:3], v[12:13], off offset:256
	s_waitcnt lgkmcnt(0)
	v_add_f64 v[12:13], v[4:5], v[8:9]
	v_add_f64 v[27:28], v[10:11], v[6:7]
	v_add_f64 v[29:30], v[4:5], -v[8:9]
	v_add_f64 v[4:5], v[6:7], -v[10:11]
	s_waitcnt vmcnt(3)
	v_fma_f64 v[6:7], v[29:30], v[17:18], v[12:13]
	v_fma_f64 v[8:9], v[27:28], v[17:18], v[4:5]
	v_fma_f64 v[10:11], -v[29:30], v[17:18], v[12:13]
	v_fma_f64 v[12:13], v[27:28], v[17:18], -v[4:5]
	v_fma_f64 v[4:5], -v[27:28], v[15:16], v[6:7]
	v_fma_f64 v[6:7], v[29:30], v[15:16], v[8:9]
	v_fma_f64 v[8:9], v[27:28], v[15:16], v[10:11]
	v_fma_f64 v[10:11], v[29:30], v[15:16], v[12:13]
	ds_write_b128 v224, v[4:7] offset:21120
	ds_write_b128 v14, v[8:11] offset:36480
	ds_read_b128 v[4:7], v224 offset:23040
	ds_read_b128 v[8:11], v14 offset:34560
	s_waitcnt lgkmcnt(0)
	v_add_f64 v[12:13], v[4:5], v[8:9]
	v_add_f64 v[15:16], v[10:11], v[6:7]
	v_add_f64 v[17:18], v[4:5], -v[8:9]
	v_add_f64 v[4:5], v[6:7], -v[10:11]
	s_waitcnt vmcnt(2)
	v_fma_f64 v[6:7], v[17:18], v[25:26], v[12:13]
	v_fma_f64 v[8:9], v[15:16], v[25:26], v[4:5]
	v_fma_f64 v[10:11], -v[17:18], v[25:26], v[12:13]
	v_fma_f64 v[12:13], v[15:16], v[25:26], -v[4:5]
	v_mul_u32_u24_e32 v25, 10, v218
	v_lshl_add_u32 v253, v25, 4, 0
	v_fma_f64 v[4:5], -v[15:16], v[23:24], v[6:7]
	v_fma_f64 v[6:7], v[17:18], v[23:24], v[8:9]
	v_fma_f64 v[8:9], v[15:16], v[23:24], v[10:11]
	;; [unrolled: 1-line block ×3, first 2 shown]
	ds_write_b128 v224, v[4:7] offset:23040
	ds_write_b128 v14, v[8:11] offset:34560
	ds_read_b128 v[4:7], v224 offset:24960
	ds_read_b128 v[8:11], v14 offset:32640
	v_mov_b32_e32 v24, 9
	s_waitcnt lgkmcnt(0)
	v_add_f64 v[12:13], v[4:5], v[8:9]
	v_add_f64 v[15:16], v[10:11], v[6:7]
	v_add_f64 v[17:18], v[4:5], -v[8:9]
	v_add_f64 v[4:5], v[6:7], -v[10:11]
	s_waitcnt vmcnt(1)
	v_fma_f64 v[6:7], v[17:18], v[21:22], v[12:13]
	v_fma_f64 v[8:9], v[15:16], v[21:22], v[4:5]
	v_fma_f64 v[10:11], -v[17:18], v[21:22], v[12:13]
	v_fma_f64 v[12:13], v[15:16], v[21:22], -v[4:5]
	v_fma_f64 v[4:5], -v[15:16], v[19:20], v[6:7]
	v_fma_f64 v[6:7], v[17:18], v[19:20], v[8:9]
	v_fma_f64 v[8:9], v[15:16], v[19:20], v[10:11]
	;; [unrolled: 1-line block ×3, first 2 shown]
	ds_write_b128 v224, v[4:7] offset:24960
	ds_write_b128 v14, v[8:11] offset:32640
	ds_read_b128 v[6:9], v224 offset:26880
	ds_read_b128 v[10:13], v14 offset:30720
	s_waitcnt lgkmcnt(0)
	v_add_f64 v[15:16], v[6:7], v[10:11]
	v_add_f64 v[4:5], v[12:13], v[8:9]
	v_add_f64 v[6:7], v[6:7], -v[10:11]
	v_add_f64 v[17:18], v[8:9], -v[12:13]
	s_waitcnt vmcnt(0)
	v_fma_f64 v[8:9], v[6:7], v[2:3], v[15:16]
	v_fma_f64 v[10:11], v[4:5], v[2:3], v[17:18]
	v_fma_f64 v[12:13], -v[6:7], v[2:3], v[15:16]
	v_fma_f64 v[2:3], v[4:5], v[2:3], -v[17:18]
	v_and_b32_e32 v15, 0xff, v218
	v_mul_lo_u16 v15, 0xcd, v15
	v_lshrrev_b16 v108, 11, v15
	v_fma_f64 v[8:9], -v[4:5], v[0:1], v[8:9]
	v_fma_f64 v[10:11], v[6:7], v[0:1], v[10:11]
	v_fma_f64 v[4:5], v[4:5], v[0:1], v[12:13]
	;; [unrolled: 1-line block ×3, first 2 shown]
	v_mul_lo_u16 v0, v108, 10
	ds_write_b128 v224, v[8:11] offset:26880
	ds_write_b128 v14, v[4:7] offset:30720
	v_sub_nc_u16 v109, v218, v0
	s_waitcnt lgkmcnt(0)
	s_barrier
	buffer_gl0_inv
	s_barrier
	buffer_gl0_inv
	ds_read_b128 v[0:3], v224 offset:11520
	ds_read_b128 v[4:7], v224 offset:13440
	;; [unrolled: 1-line block ×8, first 2 shown]
	ds_read_b128 v[34:37], v224
	ds_read_b128 v[38:41], v224 offset:1920
	ds_read_b128 v[42:45], v224 offset:5760
	;; [unrolled: 1-line block ×21, first 2 shown]
	s_waitcnt lgkmcnt(25)
	v_add_f64 v[106:107], v[8:9], v[16:17]
	s_waitcnt lgkmcnt(23)
	v_add_f64 v[126:127], v[0:1], v[26:27]
	v_add_f64 v[128:129], v[10:11], v[18:19]
	;; [unrolled: 1-line block ×3, first 2 shown]
	s_waitcnt lgkmcnt(21)
	v_add_f64 v[132:133], v[34:35], v[0:1]
	v_add_f64 v[134:135], v[36:37], v[2:3]
	s_waitcnt lgkmcnt(20)
	v_add_f64 v[188:189], v[38:39], v[4:5]
	v_add_f64 v[190:191], v[40:41], v[6:7]
	;; [unrolled: 1-line block ×6, first 2 shown]
	v_add_f64 v[136:137], v[2:3], -v[28:29]
	v_add_f64 v[138:139], v[0:1], -v[8:9]
	;; [unrolled: 1-line block ×4, first 2 shown]
	s_waitcnt lgkmcnt(3)
	v_add_f64 v[206:207], v[98:99], v[110:111]
	v_add_f64 v[208:209], v[100:101], v[112:113]
	v_add_f64 v[2:3], v[10:11], -v[2:3]
	v_add_f64 v[144:145], v[10:11], -v[18:19]
	;; [unrolled: 1-line block ×5, first 2 shown]
	v_add_f64 v[156:157], v[42:43], v[50:51]
	v_add_f64 v[158:159], v[44:45], v[52:53]
	v_add_f64 v[160:161], v[58:59], v[66:67]
	v_add_f64 v[166:167], v[58:59], -v[50:51]
	v_add_f64 v[168:169], v[60:61], v[68:69]
	v_add_f64 v[172:173], v[52:53], -v[60:61]
	v_add_f64 v[174:175], v[60:61], -v[52:53]
	;; [unrolled: 1-line block ×3, first 2 shown]
	v_add_f64 v[178:179], v[50:51], v[74:75]
	v_add_f64 v[52:53], v[52:53], v[76:77]
	v_add_f64 v[182:183], v[66:67], -v[74:75]
	v_add_f64 v[194:195], v[14:15], -v[22:23]
	;; [unrolled: 1-line block ×4, first 2 shown]
	v_add_f64 v[210:211], v[82:83], v[90:91]
	v_add_f64 v[212:213], v[84:85], v[92:93]
	s_waitcnt lgkmcnt(1)
	v_add_f64 v[214:215], v[110:111], v[118:119]
	v_add_f64 v[216:217], v[112:113], v[120:121]
	;; [unrolled: 1-line block ×5, first 2 shown]
	v_add_f64 v[231:232], v[12:13], -v[20:21]
	v_add_f64 v[233:234], v[6:7], -v[14:15]
	v_add_f64 v[235:236], v[14:15], -v[6:7]
	v_add_f64 v[237:238], v[46:47], v[54:55]
	v_add_f64 v[239:240], v[48:49], v[56:57]
	v_add_f64 v[249:250], v[84:85], -v[92:93]
	v_add_f64 v[251:252], v[110:111], -v[82:83]
	v_add_f64 v[8:9], v[132:133], v[8:9]
	v_add_f64 v[10:11], v[134:135], v[10:11]
	v_add_f64 v[132:133], v[82:83], -v[110:111]
	v_add_f64 v[134:135], v[112:113], -v[84:85]
	v_fma_f64 v[106:107], v[106:107], -0.5, v[34:35]
	v_fma_f64 v[34:35], v[126:127], -0.5, v[34:35]
	;; [unrolled: 1-line block ×4, first 2 shown]
	v_add_f64 v[128:129], v[84:85], -v[112:113]
	v_add_f64 v[130:131], v[82:83], -v[90:91]
	v_add_f64 v[12:13], v[188:189], v[12:13]
	v_add_f64 v[14:15], v[190:191], v[14:15]
	;; [unrolled: 1-line block ×3, first 2 shown]
	s_waitcnt lgkmcnt(0)
	v_add_f64 v[190:191], v[116:117], v[124:125]
	v_add_f64 v[82:83], v[206:207], v[82:83]
	;; [unrolled: 1-line block ×5, first 2 shown]
	v_add_f64 v[164:165], v[50:51], -v[58:59]
	v_add_f64 v[180:181], v[74:75], -v[66:67]
	;; [unrolled: 1-line block ×3, first 2 shown]
	v_fma_f64 v[192:193], v[192:193], -0.5, v[38:39]
	v_fma_f64 v[38:39], v[198:199], -0.5, v[38:39]
	v_fma_f64 v[196:197], v[196:197], -0.5, v[40:41]
	v_fma_f64 v[40:41], v[200:201], -0.5, v[40:41]
	v_add_f64 v[198:199], v[86:87], v[94:95]
	v_add_f64 v[200:201], v[114:115], v[122:123]
	v_add_f64 v[148:149], v[26:27], -v[16:17]
	v_add_f64 v[150:151], v[16:17], -v[26:27]
	v_add_f64 v[229:230], v[56:57], v[80:81]
	v_add_f64 v[245:246], v[32:33], -v[22:23]
	v_add_f64 v[184:185], v[76:77], -v[68:69]
	;; [unrolled: 1-line block ×6, first 2 shown]
	v_add_f64 v[58:59], v[156:157], v[58:59]
	v_add_f64 v[60:61], v[158:159], v[60:61]
	v_add_f64 v[158:159], v[64:65], -v[72:73]
	v_fma_f64 v[160:161], v[160:161], -0.5, v[42:43]
	v_fma_f64 v[42:43], v[178:179], -0.5, v[42:43]
	;; [unrolled: 1-line block ×4, first 2 shown]
	v_add_f64 v[52:53], v[54:55], -v[62:63]
	v_add_f64 v[178:179], v[62:63], -v[54:55]
	v_fma_f64 v[210:211], v[210:211], -0.5, v[98:99]
	v_fma_f64 v[98:99], v[214:215], -0.5, v[98:99]
	v_fma_f64 v[212:213], v[212:213], -0.5, v[100:101]
	v_fma_f64 v[100:101], v[216:217], -0.5, v[100:101]
	v_add_f64 v[214:215], v[62:63], -v[70:71]
	v_add_f64 v[216:217], v[56:57], -v[64:65]
	v_fma_f64 v[222:223], v[222:223], -0.5, v[46:47]
	v_fma_f64 v[46:47], v[225:226], -0.5, v[46:47]
	v_fma_f64 v[225:226], v[227:228], -0.5, v[48:49]
	v_add_f64 v[227:228], v[64:65], -v[56:57]
	v_add_f64 v[62:63], v[237:238], v[62:63]
	v_add_f64 v[64:65], v[239:240], v[64:65]
	v_add_f64 v[237:238], v[114:115], -v[86:87]
	v_add_f64 v[239:240], v[86:87], -v[114:115]
	v_fma_f64 v[188:189], v[188:189], -0.5, v[104:105]
	v_fma_f64 v[104:105], v[190:191], -0.5, v[104:105]
	v_add_f64 v[190:191], v[86:87], -v[94:95]
	v_add_f64 v[86:87], v[206:207], v[86:87]
	v_add_f64 v[206:207], v[208:209], v[88:89]
	;; [unrolled: 1-line block ×3, first 2 shown]
	v_add_f64 v[152:153], v[92:93], -v[120:121]
	v_add_f64 v[154:155], v[2:3], v[154:155]
	v_add_f64 v[2:3], v[72:73], -v[80:81]
	v_add_f64 v[166:167], v[166:167], v[182:183]
	v_add_f64 v[182:183], v[122:123], -v[94:95]
	v_add_f64 v[0:1], v[0:1], -v[26:27]
	;; [unrolled: 1-line block ×4, first 2 shown]
	v_fma_f64 v[198:199], v[198:199], -0.5, v[102:103]
	v_fma_f64 v[102:103], v[200:201], -0.5, v[102:103]
	v_add_f64 v[200:201], v[116:117], -v[88:89]
	v_add_f64 v[208:209], v[90:91], -v[118:119]
	v_add_f64 v[164:165], v[164:165], v[180:181]
	v_add_f64 v[180:181], v[78:79], -v[70:71]
	v_add_f64 v[174:175], v[174:175], v[186:187]
	v_add_f64 v[186:187], v[124:125], -v[96:97]
	v_add_f64 v[4:5], v[4:5], -v[30:31]
	;; [unrolled: 1-line block ×4, first 2 shown]
	v_fma_f64 v[48:49], v[229:230], -0.5, v[48:49]
	v_add_f64 v[229:230], v[88:89], -v[96:97]
	v_add_f64 v[88:89], v[88:89], -v[116:117]
	;; [unrolled: 1-line block ×4, first 2 shown]
	v_add_f64 v[138:139], v[138:139], v[148:149]
	v_add_f64 v[148:149], v[120:121], -v[92:93]
	v_add_f64 v[140:141], v[140:141], v[150:151]
	v_add_f64 v[150:151], v[80:81], -v[72:73]
	;; [unrolled: 2-line block ×3, first 2 shown]
	v_add_f64 v[56:57], v[56:57], -v[80:81]
	v_add_f64 v[172:173], v[172:173], v[184:185]
	v_add_f64 v[184:185], v[70:71], -v[78:79]
	v_add_f64 v[202:203], v[202:203], v[241:242]
	v_add_f64 v[241:242], v[94:95], -v[122:123]
	v_add_f64 v[6:7], v[6:7], -v[32:33]
	;; [unrolled: 1-line block ×3, first 2 shown]
	v_add_f64 v[128:129], v[128:129], v[152:153]
	v_add_f64 v[152:153], v[237:238], v[182:183]
	;; [unrolled: 1-line block ×15, first 2 shown]
	v_fma_f64 v[64:65], v[144:145], s[4:5], v[34:35]
	v_fma_f64 v[90:91], v[50:51], s[4:5], v[168:169]
	;; [unrolled: 1-line block ×7, first 2 shown]
	v_add_f64 v[132:133], v[132:133], v[208:209]
	v_add_f64 v[52:53], v[52:53], v[180:181]
	;; [unrolled: 1-line block ×3, first 2 shown]
	v_fma_f64 v[68:69], v[136:137], s[18:19], v[106:107]
	v_fma_f64 v[82:83], v[136:137], s[4:5], v[106:107]
	;; [unrolled: 1-line block ×14, first 2 shown]
	v_add_f64 v[54:55], v[54:55], -v[78:79]
	v_add_f64 v[134:135], v[134:135], v[148:149]
	v_add_f64 v[148:149], v[204:205], v[243:244]
	;; [unrolled: 1-line block ×5, first 2 shown]
	v_fma_f64 v[70:71], v[0:1], s[4:5], v[126:127]
	v_fma_f64 v[168:169], v[4:5], s[4:5], v[196:197]
	;; [unrolled: 1-line block ×13, first 2 shown]
	v_add_f64 v[178:179], v[178:179], v[184:185]
	v_add_f64 v[184:185], v[239:240], v[241:242]
	v_fma_f64 v[239:240], v[56:57], s[18:19], v[222:223]
	v_fma_f64 v[126:127], v[231:232], s[18:19], v[40:41]
	;; [unrolled: 1-line block ×8, first 2 shown]
	v_add_f64 v[26:27], v[2:3], v[26:27]
	v_add_f64 v[8:9], v[8:9], v[28:29]
	;; [unrolled: 1-line block ×12, first 2 shown]
	v_fma_f64 v[58:59], v[136:137], s[20:21], v[64:65]
	v_fma_f64 v[64:65], v[170:171], s[6:7], v[90:91]
	;; [unrolled: 1-line block ×8, first 2 shown]
	v_add_f64 v[156:157], v[251:252], v[156:157]
	v_fma_f64 v[68:69], v[144:145], s[20:21], v[68:69]
	v_fma_f64 v[72:73], v[144:145], s[6:7], v[82:83]
	;; [unrolled: 1-line block ×39, first 2 shown]
	v_add_f64 v[0:1], v[26:27], v[10:11]
	v_add_f64 v[2:3], v[8:9], v[16:17]
	v_add_f64 v[4:5], v[26:27], -v[10:11]
	v_add_f64 v[6:7], v[8:9], -v[16:17]
	v_add_f64 v[8:9], v[12:13], v[18:19]
	v_add_f64 v[10:11], v[14:15], v[20:21]
	v_add_f64 v[12:13], v[12:13], -v[18:19]
	v_add_f64 v[14:15], v[14:15], -v[20:21]
	;; [unrolled: 4-line block ×3, first 2 shown]
	v_fma_f64 v[26:27], v[172:173], s[10:11], v[64:65]
	v_fma_f64 v[28:29], v[164:165], s[10:11], v[76:77]
	;; [unrolled: 1-line block ×36, first 2 shown]
	s_barrier
	buffer_gl0_inv
	ds_write_b128 v253, v[0:3]
	ds_write_b128 v253, v[4:7] offset:80
	ds_write_b128 v253, v[8:11] offset:19200
	;; [unrolled: 1-line block ×5, first 2 shown]
	v_mul_f64 v[0:1], v[26:27], s[20:21]
	v_mul_f64 v[2:3], v[28:29], s[6:7]
	v_fma_f64 v[50:51], v[166:167], s[10:11], v[50:51]
	v_mul_f64 v[4:5], v[62:63], s[18:19]
	v_mul_f64 v[6:7], v[62:63], s[10:11]
	v_fma_f64 v[34:35], v[136:137], s[6:7], v[34:35]
	v_fma_f64 v[42:43], v[166:167], s[10:11], v[42:43]
	v_mul_f64 v[8:9], v[44:45], s[18:19]
	v_mul_f64 v[10:11], v[44:45], s[12:13]
	;; [unrolled: 1-line block ×6, first 2 shown]
	v_fma_f64 v[136:137], v[214:215], s[6:7], v[241:242]
	v_fma_f64 v[90:91], v[132:133], s[10:11], v[90:91]
	v_mul_f64 v[20:21], v[84:85], s[18:19]
	v_mul_f64 v[22:23], v[84:85], s[10:11]
	;; [unrolled: 1-line block ×8, first 2 shown]
	v_fma_f64 v[114:115], v[184:185], s[10:11], v[114:115]
	v_mul_f64 v[88:89], v[54:55], s[18:19]
	v_mul_f64 v[54:55], v[54:55], s[10:11]
	v_fma_f64 v[128:129], v[182:183], s[10:11], v[48:49]
	v_fma_f64 v[48:49], v[184:185], s[10:11], v[102:103]
	v_mul_f64 v[122:123], v[46:47], s[18:19]
	v_mul_f64 v[46:47], v[46:47], s[12:13]
	v_fma_f64 v[144:145], v[214:215], s[20:21], v[225:226]
	v_fma_f64 v[102:103], v[52:53], s[10:11], v[126:127]
	v_fma_f64 v[52:53], v[152:153], s[10:11], v[146:147]
	v_mul_f64 v[126:127], v[56:57], s[20:21]
	v_mul_f64 v[56:57], v[56:57], s[14:15]
	v_fma_f64 v[28:29], v[28:29], s[16:17], v[0:1]
	v_fma_f64 v[26:27], v[26:27], s[16:17], v[2:3]
	;; [unrolled: 1-line block ×32, first 2 shown]
	v_add_f64 v[0:1], v[30:31], v[28:29]
	v_add_f64 v[2:3], v[32:33], v[26:27]
	;; [unrolled: 1-line block ×6, first 2 shown]
	v_add_f64 v[4:5], v[30:31], -v[28:29]
	v_add_f64 v[6:7], v[32:33], -v[26:27]
	v_add_f64 v[26:27], v[66:67], v[134:135]
	v_add_f64 v[28:29], v[68:69], v[70:71]
	v_add_f64 v[12:13], v[58:59], -v[130:131]
	v_add_f64 v[14:15], v[60:61], -v[50:51]
	;; [unrolled: 1-line block ×6, first 2 shown]
	v_add_f64 v[34:35], v[76:77], v[74:75]
	v_add_f64 v[36:37], v[78:79], v[72:73]
	;; [unrolled: 1-line block ×8, first 2 shown]
	v_mul_u32_u24_sdwa v219, v109, v24 dst_sel:DWORD dst_unused:UNUSED_PAD src0_sel:BYTE_0 src1_sel:DWORD
	v_add_f64 v[38:39], v[76:77], -v[74:75]
	v_add_f64 v[40:41], v[78:79], -v[72:73]
	;; [unrolled: 1-line block ×8, first 2 shown]
	v_add_f64 v[66:67], v[112:113], v[84:85]
	v_add_f64 v[68:69], v[116:117], v[86:87]
	v_lshlrev_b32_e32 v25, 4, v219
	v_add_f64 v[74:75], v[118:119], v[88:89]
	v_add_f64 v[76:77], v[120:121], v[100:101]
	v_add_f64 v[70:71], v[112:113], -v[84:85]
	v_add_f64 v[82:83], v[124:125], v[106:107]
	v_add_f64 v[84:85], v[128:129], v[110:111]
	v_add_f64 v[78:79], v[118:119], -v[88:89]
	v_add_f64 v[88:89], v[128:129], -v[110:111]
	v_add_f64 v[90:91], v[102:103], v[114:115]
	v_add_f64 v[92:93], v[104:105], v[122:123]
	v_add_nc_u16 v111, v218, 0x78
	v_add_f64 v[72:73], v[116:117], -v[86:87]
	v_add_f64 v[80:81], v[120:121], -v[100:101]
	v_add_f64 v[86:87], v[124:125], -v[106:107]
	v_add_f64 v[94:95], v[102:103], -v[114:115]
	v_add_f64 v[96:97], v[104:105], -v[122:123]
	ds_write_b128 v253, v[0:3] offset:16
	ds_write_b128 v253, v[8:11] offset:32
	;; [unrolled: 1-line block ×24, first 2 shown]
	s_waitcnt lgkmcnt(0)
	s_barrier
	buffer_gl0_inv
	s_clause 0x1
	global_load_dwordx4 v[0:3], v25, s[8:9]
	global_load_dwordx4 v[20:23], v25, s[8:9] offset:16
	v_and_b32_e32 v112, 0xff, v111
	s_clause 0x2
	global_load_dwordx4 v[16:19], v25, s[8:9] offset:32
	global_load_dwordx4 v[12:15], v25, s[8:9] offset:48
	;; [unrolled: 1-line block ×3, first 2 shown]
	v_add_nc_u32_e32 v110, 0xf0, v218
	v_mul_lo_u16 v4, 0xcd, v112
	v_mov_b32_e32 v26, 0xcccd
	s_clause 0x2
	global_load_dwordx4 v[72:75], v25, s[8:9] offset:96
	global_load_dwordx4 v[68:71], v25, s[8:9] offset:112
	;; [unrolled: 1-line block ×3, first 2 shown]
	v_lshrrev_b16 v115, 11, v4
	v_mul_u32_u24_sdwa v26, v110, v26 dst_sel:DWORD dst_unused:UNUSED_PAD src0_sel:WORD_0 src1_sel:DWORD
	v_mov_b32_e32 v119, 0x640
	v_mov_b32_e32 v114, 4
	v_add_nc_u32_e32 v113, 0xffffff9c, v218
	v_mul_lo_u16 v4, v115, 10
	v_lshrrev_b32_e32 v117, 19, v26
	v_mul_u32_u24_sdwa v128, v108, v119 dst_sel:DWORD dst_unused:UNUSED_PAD src0_sel:WORD_0 src1_sel:DWORD
	v_mul_u32_u24_sdwa v130, v115, v119 dst_sel:DWORD dst_unused:UNUSED_PAD src0_sel:WORD_0 src1_sel:DWORD
	v_cndmask_b32_e64 v113, v113, v218, s0
	v_sub_nc_u16 v116, v111, v4
	global_load_dwordx4 v[4:7], v25, s[8:9] offset:80
	v_mul_lo_u16 v25, v117, 10
	v_mov_b32_e32 v223, 0
	v_mul_i32_i24_e32 v222, 5, v113
	v_mul_u32_u24_sdwa v27, v116, v24 dst_sel:DWORD dst_unused:UNUSED_PAD src0_sel:BYTE_0 src1_sel:DWORD
	v_mul_u32_u24_e32 v129, 0x640, v117
	v_sub_nc_u16 v118, v110, v25
	v_lshlrev_b32_sdwa v115, v114, v109 dst_sel:DWORD dst_unused:UNUSED_PAD src0_sel:DWORD src1_sel:BYTE_0
	v_lshlrev_b64 v[126:127], 4, v[222:223]
	v_lshlrev_b32_e32 v32, 4, v27
	s_clause 0x3
	global_load_dwordx4 v[60:63], v32, s[8:9]
	global_load_dwordx4 v[52:55], v32, s[8:9] offset:16
	global_load_dwordx4 v[48:51], v32, s[8:9] offset:32
	;; [unrolled: 1-line block ×3, first 2 shown]
	v_mul_u32_u24_sdwa v33, v118, v24 dst_sel:DWORD dst_unused:UNUSED_PAD src0_sel:WORD_0 src1_sel:DWORD
	s_clause 0x3
	global_load_dwordx4 v[40:43], v32, s[8:9] offset:64
	global_load_dwordx4 v[28:31], v32, s[8:9] offset:80
	global_load_dwordx4 v[36:39], v32, s[8:9] offset:96
	global_load_dwordx4 v[24:27], v32, s[8:9] offset:112
	v_lshlrev_b32_sdwa v131, v114, v118 dst_sel:DWORD dst_unused:UNUSED_PAD src0_sel:DWORD src1_sel:WORD_0
	v_lshlrev_b32_sdwa v116, v114, v116 dst_sel:DWORD dst_unused:UNUSED_PAD src0_sel:DWORD src1_sel:BYTE_0
	v_lshlrev_b32_e32 v104, 4, v33
	s_clause 0x9
	global_load_dwordx4 v[32:35], v32, s[8:9] offset:128
	global_load_dwordx4 v[56:59], v104, s[8:9]
	global_load_dwordx4 v[76:79], v104, s[8:9] offset:16
	global_load_dwordx4 v[80:83], v104, s[8:9] offset:32
	;; [unrolled: 1-line block ×8, first 2 shown]
	ds_read_b128 v[118:121], v224 offset:5760
	ds_read_b128 v[122:125], v224 offset:11520
	v_add_co_u32 v108, s0, s8, v126
	v_add_co_ci_u32_e64 v109, s0, s9, v127, s0
	v_add3_u32 v117, 0, v128, v115
	v_add3_u32 v115, 0, v129, v131
	v_add3_u32 v116, 0, v130, v116
	ds_read_b128 v[126:129], v224 offset:28800
	ds_read_b128 v[130:133], v224 offset:13440
	;; [unrolled: 1-line block ×26, first 2 shown]
	v_cmp_lt_u32_e64 s0, 0x63, v218
	s_waitcnt vmcnt(26) lgkmcnt(27)
	v_mul_f64 v[237:238], v[120:121], v[2:3]
	s_waitcnt vmcnt(25) lgkmcnt(26)
	v_mul_f64 v[239:240], v[124:125], v[22:23]
	v_mul_f64 v[22:23], v[122:123], v[22:23]
	s_waitcnt vmcnt(24) lgkmcnt(23)
	v_mul_f64 v[241:242], v[136:137], v[18:19]
	v_mul_f64 v[243:244], v[134:135], v[18:19]
	;; [unrolled: 1-line block ×3, first 2 shown]
	s_waitcnt vmcnt(23) lgkmcnt(21)
	v_mul_f64 v[245:246], v[144:145], v[14:15]
	v_mul_f64 v[14:15], v[142:143], v[14:15]
	v_fma_f64 v[118:119], v[118:119], v[0:1], v[237:238]
	s_waitcnt vmcnt(22)
	v_mul_f64 v[237:238], v[128:129], v[10:11]
	v_mul_f64 v[10:11], v[126:127], v[10:11]
	v_fma_f64 v[22:23], v[124:125], v[20:21], -v[22:23]
	s_waitcnt vmcnt(18) lgkmcnt(19)
	v_mul_f64 v[124:125], v[152:153], v[6:7]
	v_mul_f64 v[6:7], v[150:151], v[6:7]
	v_fma_f64 v[122:123], v[122:123], v[20:21], v[239:240]
	v_fma_f64 v[134:135], v[134:135], v[16:17], v[241:242]
	v_fma_f64 v[16:17], v[136:137], v[16:17], -v[243:244]
	s_waitcnt lgkmcnt(9)
	v_mul_f64 v[136:137], v[192:193], v[74:75]
	v_mul_f64 v[74:75], v[190:191], v[74:75]
	;; [unrolled: 1-line block ×4, first 2 shown]
	v_fma_f64 v[142:143], v[142:143], v[12:13], v[245:246]
	v_fma_f64 v[12:13], v[144:145], v[12:13], -v[14:15]
	s_waitcnt lgkmcnt(5)
	v_mul_f64 v[14:15], v[208:209], v[66:67]
	v_mul_f64 v[66:67], v[206:207], v[66:67]
	s_waitcnt vmcnt(17)
	v_mul_f64 v[144:145], v[172:173], v[62:63]
	v_mul_f64 v[62:63], v[170:171], v[62:63]
	v_fma_f64 v[120:121], v[120:121], v[0:1], -v[2:3]
	ds_read_b128 v[0:3], v224
	ds_read_b128 v[18:21], v224 offset:1920
	s_waitcnt vmcnt(0) lgkmcnt(0)
	s_barrier
	v_fma_f64 v[126:127], v[126:127], v[8:9], v[237:238]
	v_fma_f64 v[8:9], v[128:129], v[8:9], -v[10:11]
	v_mul_f64 v[10:11], v[132:133], v[54:55]
	v_mul_f64 v[54:55], v[130:131], v[54:55]
	v_mul_f64 v[128:129], v[180:181], v[50:51]
	v_mul_f64 v[50:51], v[178:179], v[50:51]
	v_fma_f64 v[124:125], v[150:151], v[4:5], v[124:125]
	v_fma_f64 v[4:5], v[152:153], v[4:5], -v[6:7]
	v_mul_f64 v[6:7], v[148:149], v[46:47]
	v_mul_f64 v[46:47], v[146:147], v[46:47]
	v_mul_f64 v[150:151], v[200:201], v[42:43]
	v_mul_f64 v[42:43], v[198:199], v[42:43]
	;; [unrolled: 6-line block ×6, first 2 shown]
	v_fma_f64 v[10:11], v[130:131], v[52:53], v[10:11]
	v_fma_f64 v[52:53], v[132:133], v[52:53], -v[54:55]
	v_mul_f64 v[54:55], v[204:205], v[90:91]
	v_mul_f64 v[90:91], v[202:203], v[90:91]
	v_mul_f64 v[130:131], v[196:197], v[94:95]
	v_fma_f64 v[128:129], v[178:179], v[48:49], v[128:129]
	v_fma_f64 v[48:49], v[180:181], v[48:49], -v[50:51]
	v_mul_f64 v[50:51], v[227:228], v[98:99]
	v_mul_f64 v[98:99], v[225:226], v[98:99]
	v_mul_f64 v[132:133], v[212:213], v[102:103]
	v_fma_f64 v[6:7], v[146:147], v[44:45], v[6:7]
	v_fma_f64 v[44:45], v[148:149], v[44:45], -v[46:47]
	v_mul_f64 v[46:47], v[235:236], v[106:107]
	v_mul_f64 v[106:107], v[233:234], v[106:107]
	v_mul_f64 v[94:95], v[194:195], v[94:95]
	v_mul_f64 v[102:103], v[210:211], v[102:103]
	v_fma_f64 v[146:147], v[198:199], v[40:41], v[150:151]
	v_fma_f64 v[40:41], v[200:201], v[40:41], -v[42:43]
	v_fma_f64 v[42:43], v[154:155], v[28:29], v[74:75]
	v_fma_f64 v[28:29], v[156:157], v[28:29], -v[30:31]
	;; [unrolled: 2-line block ×9, first 2 shown]
	v_fma_f64 v[78:79], v[204:205], v[88:89], -v[90:91]
	v_fma_f64 v[80:81], v[194:195], v[92:93], v[130:131]
	v_fma_f64 v[50:51], v[225:226], v[96:97], v[50:51]
	v_fma_f64 v[84:85], v[227:228], v[96:97], -v[98:99]
	v_fma_f64 v[86:87], v[210:211], v[100:101], v[132:133]
	v_fma_f64 v[90:91], v[235:236], v[104:105], -v[106:107]
	v_add_f64 v[96:97], v[118:119], v[134:135]
	v_add_f64 v[98:99], v[120:121], v[16:17]
	v_add_f64 v[130:131], v[122:123], -v[142:143]
	v_add_f64 v[132:133], v[158:159], -v[124:125]
	;; [unrolled: 1-line block ×4, first 2 shown]
	v_fma_f64 v[54:55], v[202:203], v[88:89], v[54:55]
	v_fma_f64 v[82:83], v[196:197], v[92:93], -v[94:95]
	v_fma_f64 v[88:89], v[212:213], v[100:101], -v[102:103]
	v_fma_f64 v[46:47], v[233:234], v[104:105], v[46:47]
	v_add_f64 v[92:93], v[0:1], v[122:123]
	v_add_f64 v[94:95], v[2:3], v[22:23]
	v_add_f64 v[148:149], v[134:135], -v[126:127]
	v_add_f64 v[150:151], v[14:15], -v[136:137]
	;; [unrolled: 1-line block ×6, first 2 shown]
	v_add_f64 v[100:101], v[142:143], v[124:125]
	v_add_f64 v[102:103], v[122:123], v[158:159]
	;; [unrolled: 1-line block ×6, first 2 shown]
	v_add_f64 v[164:165], v[126:127], -v[136:137]
	v_add_f64 v[172:173], v[8:9], -v[72:73]
	;; [unrolled: 1-line block ×6, first 2 shown]
	v_add_f64 v[96:97], v[96:97], v[126:127]
	v_add_f64 v[126:127], v[70:71], -v[78:79]
	v_add_f64 v[8:9], v[98:99], v[8:9]
	v_add_f64 v[98:99], v[90:91], -v[84:85]
	;; [unrolled: 2-line block ×4, first 2 shown]
	v_add_f64 v[204:205], v[74:75], v[80:81]
	v_add_f64 v[208:209], v[58:59], v[86:87]
	;; [unrolled: 1-line block ×8, first 2 shown]
	v_add_f64 v[162:163], v[134:135], -v[14:15]
	v_add_f64 v[174:175], v[22:23], -v[68:69]
	;; [unrolled: 1-line block ×4, first 2 shown]
	v_add_f64 v[134:135], v[134:135], v[14:15]
	v_add_f64 v[225:226], v[10:11], -v[6:7]
	v_add_f64 v[227:228], v[38:39], -v[42:43]
	;; [unrolled: 1-line block ×13, first 2 shown]
	v_add_f64 v[206:207], v[20:21], v[52:53]
	v_add_f64 v[237:238], v[48:49], -v[40:41]
	v_add_f64 v[239:240], v[32:33], -v[36:37]
	v_add_f64 v[92:93], v[92:93], v[142:143]
	v_add_f64 v[142:143], v[62:63], -v[54:55]
	v_add_f64 v[12:13], v[94:95], v[12:13]
	;; [unrolled: 2-line block ×5, first 2 shown]
	v_add_f64 v[235:236], v[144:145], v[128:129]
	v_add_f64 v[170:171], v[16:17], -v[64:65]
	v_add_f64 v[188:189], v[136:137], -v[14:15]
	v_add_f64 v[16:17], v[16:17], v[64:65]
	v_add_f64 v[202:203], v[18:19], v[10:11]
	v_fma_f64 v[100:101], v[100:101], -0.5, v[0:1]
	v_fma_f64 v[0:1], v[102:103], -0.5, v[0:1]
	;; [unrolled: 1-line block ×4, first 2 shown]
	v_add_f64 v[104:105], v[40:41], -v[48:49]
	v_add_f64 v[106:107], v[36:37], -v[32:33]
	v_add_f64 v[245:246], v[245:246], v[247:248]
	v_add_f64 v[247:248], v[60:61], v[48:49]
	v_add_f64 v[98:99], v[126:127], v[98:99]
	v_add_f64 v[126:127], v[34:35], v[62:63]
	v_add_f64 v[132:133], v[132:133], v[140:141]
	v_add_f64 v[140:141], v[56:57], v[70:71]
	v_add_f64 v[214:215], v[166:167], v[58:59]
	v_add_f64 v[216:217], v[168:169], v[66:67]
	v_fma_f64 v[204:205], v[204:205], -0.5, v[166:167]
	v_fma_f64 v[166:167], v[208:209], -0.5, v[166:167]
	;; [unrolled: 1-line block ×4, first 2 shown]
	v_add_f64 v[210:211], v[66:67], -v[76:77]
	v_add_f64 v[212:213], v[88:89], -v[82:83]
	v_fma_f64 v[194:195], v[194:195], -0.5, v[18:19]
	v_fma_f64 v[18:19], v[196:197], -0.5, v[18:19]
	;; [unrolled: 1-line block ×4, first 2 shown]
	v_add_f64 v[198:199], v[58:59], -v[74:75]
	v_add_f64 v[200:201], v[86:87], -v[80:81]
	;; [unrolled: 1-line block ×3, first 2 shown]
	v_add_f64 v[22:23], v[22:23], v[184:185]
	v_add_f64 v[184:185], v[78:79], -v[70:71]
	v_fma_f64 v[156:157], v[156:157], -0.5, v[118:119]
	v_fma_f64 v[118:119], v[134:135], -0.5, v[118:119]
	v_add_f64 v[134:135], v[84:85], -v[90:91]
	v_add_f64 v[225:226], v[225:226], v[227:228]
	v_add_f64 v[227:228], v[146:147], v[30:31]
	;; [unrolled: 1-line block ×9, first 2 shown]
	v_add_f64 v[192:193], v[44:45], -v[28:29]
	v_add_f64 v[237:238], v[237:238], v[239:240]
	v_add_f64 v[239:240], v[146:147], -v[30:31]
	v_add_f64 v[94:95], v[142:143], v[94:95]
	v_add_f64 v[142:143], v[54:55], v[50:51]
	;; [unrolled: 1-line block ×8, first 2 shown]
	v_fma_f64 v[160:161], v[160:161], -0.5, v[120:121]
	v_fma_f64 v[16:17], v[16:17], -0.5, v[120:121]
	v_add_f64 v[120:121], v[54:55], -v[62:63]
	v_add_f64 v[186:187], v[186:187], v[188:189]
	v_add_f64 v[188:189], v[6:7], -v[42:43]
	v_add_f64 v[104:105], v[104:105], v[106:107]
	;; [unrolled: 2-line block ×5, first 2 shown]
	v_add_f64 v[78:79], v[140:141], v[78:79]
	v_add_f64 v[210:211], v[210:211], v[212:213]
	v_add_f64 v[212:213], v[76:77], -v[82:83]
	v_add_f64 v[76:77], v[216:217], v[76:77]
	v_add_f64 v[198:199], v[198:199], v[200:201]
	v_add_f64 v[200:201], v[74:75], -v[80:81]
	;; [unrolled: 3-line block ×3, first 2 shown]
	v_add_f64 v[10:11], v[10:11], -v[38:39]
	v_add_f64 v[128:129], v[128:129], -v[26:27]
	v_add_f64 v[126:127], v[184:185], v[134:135]
	v_fma_f64 v[134:135], v[227:228], -0.5, v[144:145]
	v_fma_f64 v[140:141], v[231:232], -0.5, v[144:145]
	v_fma_f64 v[144:145], v[243:244], -0.5, v[60:61]
	v_add_f64 v[52:53], v[52:53], -v[24:25]
	v_fma_f64 v[60:61], v[251:252], -0.5, v[60:61]
	v_add_f64 v[62:63], v[62:63], -v[46:47]
	v_fma_f64 v[142:143], v[142:143], -0.5, v[34:35]
	v_fma_f64 v[34:35], v[154:155], -0.5, v[34:35]
	;; [unrolled: 1-line block ×4, first 2 shown]
	v_add_f64 v[92:93], v[92:93], v[124:125]
	v_add_f64 v[28:29], v[44:45], v[28:29]
	;; [unrolled: 1-line block ×4, first 2 shown]
	v_fma_f64 v[84:85], v[162:163], s[4:5], v[160:161]
	v_add_f64 v[48:49], v[48:49], -v[32:33]
	v_add_f64 v[6:7], v[6:7], v[42:43]
	v_add_f64 v[42:43], v[76:77], v[82:83]
	v_fma_f64 v[82:83], v[164:165], s[18:19], v[16:17]
	v_add_f64 v[70:71], v[70:71], -v[90:91]
	v_add_f64 v[4:5], v[12:13], v[4:5]
	v_add_f64 v[12:13], v[96:97], v[136:137]
	;; [unrolled: 1-line block ×5, first 2 shown]
	v_fma_f64 v[72:73], v[174:175], s[18:19], v[100:101]
	v_fma_f64 v[74:75], v[174:175], s[4:5], v[100:101]
	;; [unrolled: 1-line block ×9, first 2 shown]
	v_add_f64 v[120:121], v[120:121], v[182:183]
	v_fma_f64 v[54:55], v[176:177], s[4:5], v[0:1]
	v_fma_f64 v[182:183], v[10:11], s[4:5], v[196:197]
	;; [unrolled: 1-line block ×4, first 2 shown]
	v_add_f64 v[30:31], v[146:147], v[30:31]
	v_fma_f64 v[124:125], v[170:171], s[4:5], v[156:157]
	v_fma_f64 v[136:137], v[192:193], s[4:5], v[18:19]
	;; [unrolled: 1-line block ×15, first 2 shown]
	v_add_f64 v[92:93], v[92:93], v[158:159]
	v_fma_f64 v[158:159], v[247:248], s[4:5], v[34:35]
	v_fma_f64 v[34:35], v[247:248], s[18:19], v[34:35]
	;; [unrolled: 1-line block ×3, first 2 shown]
	v_add_f64 v[58:59], v[58:59], -v[86:87]
	v_fma_f64 v[231:232], v[200:201], s[18:19], v[168:169]
	v_fma_f64 v[168:169], v[200:201], s[4:5], v[168:169]
	;; [unrolled: 1-line block ×4, first 2 shown]
	v_add_f64 v[66:67], v[66:67], -v[88:89]
	v_fma_f64 v[140:141], v[106:107], s[18:19], v[140:141]
	v_fma_f64 v[214:215], v[48:49], s[18:19], v[134:135]
	;; [unrolled: 1-line block ×7, first 2 shown]
	v_add_f64 v[68:69], v[4:5], v[68:69]
	v_fma_f64 v[4:5], v[70:71], s[18:19], v[142:143]
	v_add_f64 v[12:13], v[12:13], v[14:15]
	v_fma_f64 v[16:17], v[162:163], s[20:21], v[16:17]
	v_fma_f64 v[118:119], v[172:173], s[20:21], v[118:119]
	;; [unrolled: 1-line block ×4, first 2 shown]
	v_add_f64 v[8:9], v[8:9], v[64:65]
	v_fma_f64 v[14:15], v[174:175], s[20:21], v[54:55]
	v_add_f64 v[24:25], v[28:29], v[24:25]
	v_add_f64 v[28:29], v[36:37], v[32:33]
	;; [unrolled: 1-line block ×3, first 2 shown]
	v_fma_f64 v[88:89], v[239:240], s[6:7], v[196:197]
	v_add_f64 v[36:37], v[44:45], v[46:47]
	v_fma_f64 v[42:43], v[52:53], s[20:21], v[136:137]
	v_fma_f64 v[44:45], v[52:53], s[6:7], v[18:19]
	;; [unrolled: 1-line block ×5, first 2 shown]
	v_add_f64 v[26:27], v[30:31], v[26:27]
	v_add_f64 v[30:31], v[40:41], v[86:87]
	;; [unrolled: 1-line block ×3, first 2 shown]
	v_fma_f64 v[60:61], v[128:129], s[20:21], v[60:61]
	v_add_f64 v[38:39], v[6:7], v[38:39]
	v_fma_f64 v[90:91], v[239:240], s[20:21], v[144:145]
	v_fma_f64 v[46:47], v[10:11], s[6:7], v[160:161]
	;; [unrolled: 1-line block ×32, first 2 shown]
	v_add_f64 v[0:1], v[92:93], v[12:13]
	v_add_f64 v[4:5], v[92:93], -v[12:13]
	v_fma_f64 v[92:93], v[148:149], s[10:11], v[118:119]
	v_fma_f64 v[118:119], v[190:191], s[10:11], v[16:17]
	;; [unrolled: 1-line block ×7, first 2 shown]
	v_add_f64 v[2:3], v[68:69], v[8:9]
	v_add_f64 v[6:7], v[68:69], -v[8:9]
	v_fma_f64 v[68:69], v[122:123], s[10:11], v[14:15]
	v_add_f64 v[10:11], v[24:25], v[28:29]
	v_add_f64 v[14:15], v[24:25], -v[28:29]
	v_fma_f64 v[24:25], v[237:238], s[10:11], v[88:89]
	v_fma_f64 v[28:29], v[104:105], s[10:11], v[52:53]
	;; [unrolled: 1-line block ×4, first 2 shown]
	v_add_f64 v[18:19], v[32:33], v[40:41]
	v_add_f64 v[22:23], v[32:33], -v[40:41]
	v_fma_f64 v[32:33], v[104:105], s[10:11], v[60:61]
	v_add_f64 v[8:9], v[38:39], v[26:27]
	v_add_f64 v[12:13], v[38:39], -v[26:27]
	v_fma_f64 v[38:39], v[237:238], s[10:11], v[90:91]
	;; [unrolled: 3-line block ×3, first 2 shown]
	v_fma_f64 v[86:87], v[241:242], s[10:11], v[42:43]
	v_fma_f64 v[42:43], v[98:99], s[10:11], v[70:71]
	;; [unrolled: 1-line block ×12, first 2 shown]
	v_mul_f64 v[58:59], v[84:85], s[20:21]
	v_mul_f64 v[60:61], v[84:85], s[16:17]
	v_fma_f64 v[100:101], v[186:187], s[10:11], v[100:101]
	v_fma_f64 v[36:37], v[249:250], s[10:11], v[48:49]
	;; [unrolled: 1-line block ×5, first 2 shown]
	v_mul_f64 v[62:63], v[82:83], s[18:19]
	v_mul_f64 v[66:67], v[82:83], s[10:11]
	v_fma_f64 v[102:103], v[186:187], s[10:11], v[102:103]
	v_mul_f64 v[70:71], v[118:119], s[18:19]
	v_mul_f64 v[82:83], v[118:119], s[12:13]
	v_fma_f64 v[54:55], v[122:123], s[10:11], v[54:55]
	v_fma_f64 v[72:73], v[130:131], s[10:11], v[72:73]
	;; [unrolled: 1-line block ×7, first 2 shown]
	v_mul_f64 v[84:85], v[96:97], s[20:21]
	v_mul_f64 v[94:95], v[96:97], s[14:15]
	buffer_gl0_inv
	v_fma_f64 v[140:141], v[188:189], s[6:7], v[182:183]
	v_fma_f64 v[26:27], v[233:234], s[10:11], v[146:147]
	ds_write_b128 v117, v[0:3]
	ds_write_b128 v117, v[4:7] offset:800
	v_mul_f64 v[0:1], v[24:25], s[20:21]
	v_mul_f64 v[2:3], v[24:25], s[16:17]
	;; [unrolled: 1-line block ×6, first 2 shown]
	v_fma_f64 v[40:41], v[233:234], s[10:11], v[106:107]
	v_mul_f64 v[32:33], v[38:39], s[20:21]
	v_mul_f64 v[38:39], v[38:39], s[14:15]
	v_fma_f64 v[158:159], v[212:213], s[20:21], v[227:228]
	v_fma_f64 v[164:165], v[200:201], s[6:7], v[235:236]
	v_mul_f64 v[96:97], v[42:43], s[20:21]
	v_mul_f64 v[42:43], v[42:43], s[16:17]
	;; [unrolled: 1-line block ×4, first 2 shown]
	v_fma_f64 v[34:35], v[120:121], s[10:11], v[34:35]
	v_mul_f64 v[118:119], v[50:51], s[18:19]
	v_mul_f64 v[50:51], v[50:51], s[12:13]
	v_fma_f64 v[162:163], v[212:213], s[6:7], v[204:205]
	v_fma_f64 v[166:167], v[200:201], s[20:21], v[208:209]
	v_mul_f64 v[142:143], v[52:53], s[20:21]
	v_mul_f64 v[52:53], v[52:53], s[14:15]
	v_fma_f64 v[58:59], v[92:93], s[16:17], v[58:59]
	v_fma_f64 v[60:61], v[92:93], s[6:7], v[60:61]
	;; [unrolled: 1-line block ×31, first 2 shown]
	v_add_f64 v[0:1], v[72:73], v[58:59]
	v_add_f64 v[2:3], v[78:79], v[60:61]
	;; [unrolled: 1-line block ×8, first 2 shown]
	v_add_f64 v[4:5], v[72:73], -v[58:59]
	v_add_f64 v[6:7], v[78:79], -v[60:61]
	;; [unrolled: 1-line block ×8, first 2 shown]
	v_add_f64 v[48:49], v[88:89], v[94:95]
	v_add_f64 v[50:51], v[124:125], v[100:101]
	;; [unrolled: 1-line block ×8, first 2 shown]
	v_add_f64 v[52:53], v[88:89], -v[94:95]
	v_add_f64 v[54:55], v[124:125], -v[100:101]
	;; [unrolled: 1-line block ×8, first 2 shown]
	v_add_f64 v[80:81], v[106:107], v[96:97]
	v_add_f64 v[82:83], v[136:137], v[154:155]
	;; [unrolled: 1-line block ×4, first 2 shown]
	v_add_f64 v[84:85], v[106:107], -v[96:97]
	v_add_f64 v[92:93], v[134:135], -v[98:99]
	v_add_f64 v[96:97], v[132:133], v[118:119]
	v_add_f64 v[98:99], v[144:145], v[158:159]
	v_add_f64 v[86:87], v[136:137], -v[154:155]
	v_add_f64 v[94:95], v[140:141], -v[156:157]
	;; [unrolled: 1-line block ×4, first 2 shown]
	v_add_f64 v[104:105], v[120:121], v[142:143]
	v_add_f64 v[106:107], v[126:127], v[160:161]
	v_add_f64 v[118:119], v[120:121], -v[142:143]
	v_add_f64 v[120:121], v[126:127], -v[160:161]
	ds_write_b128 v117, v[0:3] offset:160
	ds_write_b128 v117, v[24:27] offset:320
	;; [unrolled: 1-line block ×8, first 2 shown]
	ds_write_b128 v116, v[8:11]
	ds_write_b128 v116, v[48:51] offset:160
	ds_write_b128 v116, v[56:59] offset:320
	;; [unrolled: 1-line block ×9, first 2 shown]
	ds_write_b128 v115, v[16:19]
	ds_write_b128 v115, v[80:83] offset:160
	ds_write_b128 v115, v[88:91] offset:320
	;; [unrolled: 1-line block ×9, first 2 shown]
	v_mul_lo_u16 v4, v112, 41
	v_mov_b32_e32 v16, 0x147b
	v_lshrrev_b16 v8, 2, v110
	s_waitcnt lgkmcnt(0)
	s_barrier
	v_lshrrev_b16 v102, 12, v4
	buffer_gl0_inv
	s_clause 0x1
	global_load_dwordx4 v[0:3], v[108:109], off offset:1440
	global_load_dwordx4 v[4:7], v[108:109], off offset:1456
	v_mul_u32_u24_sdwa v12, v8, v16 dst_sel:DWORD dst_unused:UNUSED_PAD src0_sel:WORD_0 src1_sel:DWORD
	v_mul_lo_u16 v9, 0x64, v102
	v_mov_b32_e32 v24, 5
	v_add_nc_u16 v17, v218, 0x168
	v_add_nc_u16 v25, v218, 0x1e0
	v_lshrrev_b32_e32 v104, 17, v12
	v_sub_nc_u16 v103, v111, v9
	s_clause 0x1
	global_load_dwordx4 v[8:11], v[108:109], off offset:1472
	global_load_dwordx4 v[12:15], v[108:109], off offset:1488
	v_lshrrev_b16 v19, 2, v17
	v_mul_lo_u16 v20, 0x64, v104
	v_mul_u32_u24_sdwa v18, v103, v24 dst_sel:DWORD dst_unused:UNUSED_PAD src0_sel:BYTE_0 src1_sel:DWORD
	global_load_dwordx4 v[80:83], v[108:109], off offset:1504
	v_mov_b32_e32 v115, 0x2580
	v_mul_u32_u24_sdwa v19, v19, v16 dst_sel:DWORD dst_unused:UNUSED_PAD src0_sel:WORD_0 src1_sel:DWORD
	v_sub_nc_u16 v105, v110, v20
	v_lshlrev_b32_e32 v18, 4, v18
	v_lshrrev_b16 v20, 2, v25
	v_mul_u32_u24_sdwa v115, v102, v115 dst_sel:DWORD dst_unused:UNUSED_PAD src0_sel:WORD_0 src1_sel:DWORD
	v_lshrrev_b32_e32 v106, 17, v19
	v_mul_u32_u24_sdwa v19, v105, v24 dst_sel:DWORD dst_unused:UNUSED_PAD src0_sel:WORD_0 src1_sel:DWORD
	s_clause 0x1
	global_load_dwordx4 v[76:79], v18, s[8:9] offset:1440
	global_load_dwordx4 v[68:71], v18, s[8:9] offset:1456
	v_mul_u32_u24_sdwa v16, v20, v16 dst_sel:DWORD dst_unused:UNUSED_PAD src0_sel:WORD_0 src1_sel:DWORD
	s_clause 0x1
	global_load_dwordx4 v[64:67], v18, s[8:9] offset:1472
	global_load_dwordx4 v[60:63], v18, s[8:9] offset:1488
	v_lshlrev_b32_e32 v26, 4, v19
	v_mul_lo_u16 v20, 0x64, v106
	v_lshrrev_b32_e32 v108, 17, v16
	global_load_dwordx4 v[56:59], v18, s[8:9] offset:1504
	v_mul_u32_u24_e32 v104, 0x2580, v104
	global_load_dwordx4 v[36:39], v26, s[8:9] offset:1440
	v_sub_nc_u16 v107, v17, v20
	v_mul_lo_u16 v28, 0x64, v108
	s_clause 0x3
	global_load_dwordx4 v[20:23], v26, s[8:9] offset:1456
	global_load_dwordx4 v[16:19], v26, s[8:9] offset:1472
	;; [unrolled: 1-line block ×4, first 2 shown]
	v_mul_u32_u24_sdwa v27, v107, v24 dst_sel:DWORD dst_unused:UNUSED_PAD src0_sel:WORD_0 src1_sel:DWORD
	v_sub_nc_u16 v109, v25, v28
	v_mul_u32_u24_e32 v116, 0x2580, v106
	v_mul_u32_u24_e32 v117, 0x2580, v108
	v_lshlrev_b32_sdwa v118, v114, v103 dst_sel:DWORD dst_unused:UNUSED_PAD src0_sel:DWORD src1_sel:BYTE_0
	v_lshlrev_b32_e32 v29, 4, v27
	v_mul_u32_u24_sdwa v28, v109, v24 dst_sel:DWORD dst_unused:UNUSED_PAD src0_sel:WORD_0 src1_sel:DWORD
	s_clause 0x3
	global_load_dwordx4 v[52:55], v29, s[8:9] offset:1440
	global_load_dwordx4 v[48:51], v29, s[8:9] offset:1456
	;; [unrolled: 1-line block ×4, first 2 shown]
	v_lshlrev_b32_e32 v96, 4, v28
	s_clause 0x5
	global_load_dwordx4 v[28:31], v29, s[8:9] offset:1504
	global_load_dwordx4 v[72:75], v96, s[8:9] offset:1440
	;; [unrolled: 1-line block ×6, first 2 shown]
	v_lshlrev_b32_sdwa v105, v114, v105 dst_sel:DWORD dst_unused:UNUSED_PAD src0_sel:DWORD src1_sel:WORD_0
	v_lshlrev_b32_sdwa v119, v114, v107 dst_sel:DWORD dst_unused:UNUSED_PAD src0_sel:DWORD src1_sel:WORD_0
	;; [unrolled: 1-line block ×3, first 2 shown]
	ds_read_b128 v[106:109], v224 offset:9600
	v_add3_u32 v219, 0, v115, v118
	v_add3_u32 v222, 0, v104, v105
	;; [unrolled: 1-line block ×4, first 2 shown]
	ds_read_b128 v[114:117], v224 offset:48000
	ds_read_b128 v[118:121], v224 offset:19200
	;; [unrolled: 1-line block ×25, first 2 shown]
	ds_read_b128 v[214:217], v224
	ds_read_b128 v[225:228], v224 offset:1920
	s_mov_b32 s6, 0xe8584caa
	s_mov_b32 s7, 0xbfebb67a
	;; [unrolled: 1-line block ×4, first 2 shown]
	v_mul_u32_u24_e32 v100, 5, v218
	v_lshlrev_b32_e32 v101, 4, v113
	v_lshlrev_b32_e32 v112, 4, v100
	v_cndmask_b32_e64 v100, 0, 0x2580, s0
	v_add_co_u32 v111, s0, s8, v112
	v_add3_u32 v113, 0, v100, v101
	v_add_co_ci_u32_e64 v110, null, s9, 0, s0
	v_add_co_u32 v100, s0, 0x2000, v111
	v_add_co_ci_u32_e64 v101, s0, 0, v110, s0
	v_add_co_u32 v102, s0, 0x24e0, v111
	v_add_co_ci_u32_e64 v103, s0, 0, v110, s0
	s_waitcnt vmcnt(24) lgkmcnt(27)
	v_mul_f64 v[229:230], v[108:109], v[2:3]
	s_waitcnt vmcnt(23) lgkmcnt(25)
	v_mul_f64 v[231:232], v[120:121], v[6:7]
	v_mul_f64 v[6:7], v[118:119], v[6:7]
	;; [unrolled: 1-line block ×3, first 2 shown]
	s_waitcnt vmcnt(22) lgkmcnt(23)
	v_mul_f64 v[233:234], v[128:129], v[10:11]
	v_mul_f64 v[10:11], v[126:127], v[10:11]
	s_waitcnt vmcnt(21) lgkmcnt(21)
	v_mul_f64 v[235:236], v[136:137], v[14:15]
	v_mul_f64 v[14:15], v[134:135], v[14:15]
	s_waitcnt vmcnt(20)
	v_mul_f64 v[239:240], v[116:117], v[82:83]
	v_mul_f64 v[82:83], v[114:115], v[82:83]
	v_fma_f64 v[229:230], v[106:107], v[0:1], v[229:230]
	s_waitcnt vmcnt(19) lgkmcnt(19)
	v_mul_f64 v[241:242], v[144:145], v[78:79]
	v_fma_f64 v[118:119], v[118:119], v[4:5], v[231:232]
	v_fma_f64 v[4:5], v[120:121], v[4:5], -v[6:7]
	v_mul_f64 v[6:7], v[142:143], v[78:79]
	s_waitcnt vmcnt(18)
	v_mul_f64 v[78:79], v[124:125], v[70:71]
	v_mul_f64 v[70:71], v[122:123], v[70:71]
	s_waitcnt vmcnt(17) lgkmcnt(17)
	v_mul_f64 v[120:121], v[152:153], v[66:67]
	v_fma_f64 v[237:238], v[108:109], v[0:1], -v[2:3]
	v_fma_f64 v[126:127], v[126:127], v[8:9], v[233:234]
	v_fma_f64 v[8:9], v[128:129], v[8:9], -v[10:11]
	v_mul_f64 v[10:11], v[150:151], v[66:67]
	s_waitcnt vmcnt(16)
	v_mul_f64 v[66:67], v[140:141], v[62:63]
	v_mul_f64 v[62:63], v[138:139], v[62:63]
	s_waitcnt vmcnt(15) lgkmcnt(14)
	v_mul_f64 v[128:129], v[164:165], v[58:59]
	v_fma_f64 v[134:135], v[134:135], v[12:13], v[235:236]
	v_fma_f64 v[12:13], v[136:137], v[12:13], -v[14:15]
	v_mul_f64 v[14:15], v[162:163], v[58:59]
	s_waitcnt vmcnt(14)
	v_mul_f64 v[58:59], v[148:149], v[38:39]
	v_mul_f64 v[38:39], v[146:147], v[38:39]
	s_waitcnt vmcnt(13) lgkmcnt(12)
	v_mul_f64 v[136:137], v[172:173], v[22:23]
	;; [unrolled: 8-line block ×6, first 2 shown]
	v_mul_f64 v[30:31], v[206:207], v[30:31]
	v_fma_f64 v[66:67], v[138:139], v[60:61], v[66:67]
	v_fma_f64 v[60:61], v[140:141], v[60:61], -v[62:63]
	s_waitcnt vmcnt(4)
	v_mul_f64 v[62:63], v[192:193], v[74:75]
	v_mul_f64 v[74:75], v[190:191], v[74:75]
	s_waitcnt vmcnt(3)
	v_mul_f64 v[138:139], v[132:133], v[86:87]
	v_fma_f64 v[128:129], v[162:163], v[56:57], v[128:129]
	v_fma_f64 v[14:15], v[164:165], v[56:57], -v[14:15]
	v_mul_f64 v[56:57], v[130:131], v[86:87]
	s_waitcnt vmcnt(2)
	v_mul_f64 v[86:87], v[200:201], v[90:91]
	v_mul_f64 v[90:91], v[198:199], v[90:91]
	s_waitcnt vmcnt(1)
	v_mul_f64 v[140:141], v[204:205], v[94:95]
	v_fma_f64 v[58:59], v[146:147], v[36:37], v[58:59]
	v_fma_f64 v[36:37], v[148:149], v[36:37], -v[38:39]
	v_mul_f64 v[38:39], v[202:203], v[94:95]
	s_waitcnt vmcnt(0) lgkmcnt(2)
	v_mul_f64 v[94:95], v[212:213], v[98:99]
	v_mul_f64 v[98:99], v[210:211], v[98:99]
	v_fma_f64 v[136:137], v[170:171], v[20:21], v[136:137]
	v_fma_f64 v[20:21], v[172:173], v[20:21], -v[22:23]
	v_fma_f64 v[22:23], v[154:155], v[16:17], v[82:83]
	v_fma_f64 v[16:17], v[156:157], v[16:17], -v[18:19]
	;; [unrolled: 2-line block ×4, first 2 shown]
	ds_read_b128 v[0:3], v224 offset:3840
	ds_read_b128 v[106:109], v224 offset:5760
	v_fma_f64 v[42:43], v[186:187], v[52:53], v[144:145]
	v_fma_f64 v[52:53], v[188:189], v[52:53], -v[54:55]
	v_fma_f64 v[54:55], v[174:175], v[48:49], v[70:71]
	v_fma_f64 v[48:49], v[176:177], v[48:49], -v[50:51]
	;; [unrolled: 2-line block ×6, first 2 shown]
	v_fma_f64 v[64:65], v[130:131], v[84:85], v[138:139]
	v_fma_f64 v[70:71], v[198:199], v[88:89], v[86:87]
	v_fma_f64 v[72:73], v[200:201], v[88:89], -v[90:91]
	v_fma_f64 v[74:75], v[202:203], v[92:93], v[140:141]
	v_fma_f64 v[76:77], v[210:211], v[96:97], v[94:95]
	v_fma_f64 v[82:83], v[212:213], v[96:97], -v[98:99]
	s_waitcnt lgkmcnt(3)
	v_add_f64 v[90:91], v[216:217], v[4:5]
	v_add_f64 v[94:95], v[237:238], v[8:9]
	;; [unrolled: 1-line block ×3, first 2 shown]
	v_fma_f64 v[56:57], v[132:133], v[84:85], -v[56:57]
	v_fma_f64 v[38:39], v[204:205], v[92:93], -v[38:39]
	v_add_f64 v[86:87], v[4:5], v[12:13]
	v_add_f64 v[88:89], v[214:215], v[118:119]
	;; [unrolled: 1-line block ×4, first 2 shown]
	v_add_f64 v[122:123], v[4:5], -v[12:13]
	v_add_f64 v[4:5], v[78:79], v[66:67]
	s_waitcnt lgkmcnt(2)
	v_add_f64 v[130:131], v[227:228], v[68:69]
	v_add_f64 v[138:139], v[6:7], v[10:11]
	;; [unrolled: 1-line block ×3, first 2 shown]
	s_waitcnt lgkmcnt(1)
	v_add_f64 v[152:153], v[2:3], v[20:21]
	v_add_f64 v[154:155], v[58:59], v[22:23]
	;; [unrolled: 1-line block ×4, first 2 shown]
	v_add_f64 v[164:165], v[22:23], -v[34:35]
	v_add_f64 v[22:23], v[16:17], v[40:41]
	v_add_f64 v[84:85], v[118:119], v[134:135]
	;; [unrolled: 1-line block ×3, first 2 shown]
	s_waitcnt lgkmcnt(0)
	v_add_f64 v[170:171], v[106:107], v[54:55]
	v_add_f64 v[174:175], v[42:43], v[50:51]
	;; [unrolled: 1-line block ×3, first 2 shown]
	v_add_f64 v[98:99], v[126:127], -v[114:115]
	v_add_f64 v[8:9], v[8:9], -v[80:81]
	v_add_f64 v[126:127], v[225:226], v[78:79]
	v_add_f64 v[146:147], v[20:21], v[32:33]
	v_add_f64 v[166:167], v[20:21], -v[32:33]
	v_add_f64 v[20:21], v[48:49], v[24:25]
	v_add_f64 v[172:173], v[108:109], v[48:49]
	;; [unrolled: 1-line block ×10, first 2 shown]
	v_fma_f64 v[90:91], v[116:117], -0.5, v[237:238]
	v_add_f64 v[124:125], v[68:69], v[60:61]
	v_add_f64 v[144:145], v[136:137], v[18:19]
	;; [unrolled: 1-line block ×4, first 2 shown]
	v_add_f64 v[120:121], v[120:121], -v[128:129]
	v_add_f64 v[68:69], v[68:69], -v[60:61]
	;; [unrolled: 1-line block ×3, first 2 shown]
	v_add_f64 v[10:11], v[0:1], v[136:137]
	v_add_f64 v[168:169], v[16:17], -v[40:41]
	v_add_f64 v[16:17], v[54:55], v[46:47]
	v_add_f64 v[194:195], v[70:71], v[76:77]
	v_fma_f64 v[198:199], v[4:5], -0.5, v[225:226]
	v_add_f64 v[4:5], v[88:89], v[134:135]
	v_add_f64 v[88:89], v[92:93], v[114:115]
	v_fma_f64 v[92:93], v[96:97], -0.5, v[229:230]
	;; [unrolled: 3-line block ×3, first 2 shown]
	v_add_f64 v[184:185], v[160:161], v[56:57]
	v_add_f64 v[188:189], v[62:63], v[72:73]
	;; [unrolled: 1-line block ×4, first 2 shown]
	v_fma_f64 v[36:37], v[22:23], -0.5, v[36:37]
	v_fma_f64 v[84:85], v[84:85], -0.5, v[214:215]
	v_add_f64 v[50:51], v[50:51], -v[26:27]
	v_add_f64 v[54:55], v[54:55], -v[46:47]
	v_add_f64 v[94:95], v[132:133], v[128:129]
	v_add_f64 v[46:47], v[170:171], v[46:47]
	v_add_f64 v[128:129], v[174:175], v[26:27]
	v_fma_f64 v[52:53], v[192:193], -0.5, v[52:53]
	v_add_f64 v[78:79], v[78:79], -v[66:67]
	v_add_f64 v[44:45], v[44:45], -v[28:29]
	;; [unrolled: 1-line block ×5, first 2 shown]
	v_fma_f64 v[146:147], v[146:147], -0.5, v[2:3]
	v_add_f64 v[66:67], v[126:127], v[66:67]
	v_fma_f64 v[108:109], v[20:21], -0.5, v[108:109]
	v_add_f64 v[126:127], v[172:173], v[24:25]
	v_add_f64 v[130:131], v[176:177], v[28:29]
	v_fma_f64 v[132:133], v[178:179], -0.5, v[158:159]
	v_add_f64 v[74:75], v[182:183], v[74:75]
	v_add_f64 v[76:77], v[186:187], v[76:77]
	v_fma_f64 v[42:43], v[190:191], -0.5, v[42:43]
	v_fma_f64 v[62:63], v[196:197], -0.5, v[62:63]
	v_add_f64 v[2:3], v[12:13], v[80:81]
	v_add_f64 v[6:7], v[12:13], -v[80:81]
	v_fma_f64 v[80:81], v[98:99], s[4:5], v[90:91]
	v_add_f64 v[118:119], v[118:119], -v[134:135]
	v_fma_f64 v[86:87], v[86:87], -0.5, v[216:217]
	v_fma_f64 v[124:125], v[124:125], -0.5, v[227:228]
	;; [unrolled: 1-line block ×4, first 2 shown]
	v_fma_f64 v[90:91], v[98:99], s[6:7], v[90:91]
	v_add_f64 v[48:49], v[48:49], -v[24:25]
	v_add_f64 v[72:73], v[72:73], -v[82:83]
	v_fma_f64 v[114:115], v[140:141], -0.5, v[142:143]
	v_add_f64 v[116:117], v[10:11], v[18:19]
	v_fma_f64 v[106:107], v[16:17], -0.5, v[106:107]
	v_fma_f64 v[138:139], v[194:195], -0.5, v[30:31]
	v_add_f64 v[10:11], v[60:61], v[14:15]
	v_add_f64 v[14:15], v[60:61], -v[14:15]
	v_fma_f64 v[60:61], v[120:121], s[4:5], v[96:97]
	v_fma_f64 v[96:97], v[120:121], s[6:7], v[96:97]
	v_add_f64 v[136:137], v[136:137], -v[18:19]
	v_add_f64 v[34:35], v[154:155], v[34:35]
	v_fma_f64 v[58:59], v[162:163], -0.5, v[58:59]
	v_add_f64 v[38:39], v[184:185], v[38:39]
	v_add_f64 v[82:83], v[188:189], v[82:83]
	;; [unrolled: 1-line block ×3, first 2 shown]
	v_add_f64 v[22:23], v[32:33], -v[40:41]
	v_fma_f64 v[40:41], v[164:165], s[4:5], v[36:37]
	v_fma_f64 v[140:141], v[122:123], s[6:7], v[84:85]
	;; [unrolled: 1-line block ×4, first 2 shown]
	v_add_f64 v[24:25], v[46:47], v[128:129]
	v_add_f64 v[28:29], v[46:47], -v[128:129]
	v_fma_f64 v[46:47], v[50:51], s[4:5], v[52:53]
	v_fma_f64 v[50:51], v[50:51], s[6:7], v[52:53]
	v_add_f64 v[0:1], v[4:5], v[88:89]
	v_add_f64 v[4:5], v[4:5], -v[88:89]
	v_fma_f64 v[88:89], v[8:9], s[6:7], v[92:93]
	v_add_f64 v[26:27], v[126:127], v[130:131]
	v_add_f64 v[30:31], v[126:127], -v[130:131]
	v_add_f64 v[32:33], v[74:75], v[76:77]
	v_add_f64 v[36:37], v[74:75], -v[76:77]
	v_fma_f64 v[74:75], v[44:45], s[6:7], v[42:43]
	v_fma_f64 v[128:129], v[54:55], s[4:5], v[108:109]
	;; [unrolled: 1-line block ×8, first 2 shown]
	v_mul_f64 v[54:55], v[80:81], s[6:7]
	v_mul_f64 v[56:57], v[80:81], 0.5
	v_fma_f64 v[142:143], v[118:119], s[4:5], v[86:87]
	v_fma_f64 v[86:87], v[118:119], s[6:7], v[86:87]
	;; [unrolled: 1-line block ×9, first 2 shown]
	v_mul_f64 v[64:65], v[90:91], s[6:7]
	v_mul_f64 v[70:71], v[90:91], -0.5
	v_add_f64 v[8:9], v[66:67], v[94:95]
	v_add_f64 v[12:13], v[66:67], -v[94:95]
	v_fma_f64 v[66:67], v[150:151], s[6:7], v[114:115]
	v_fma_f64 v[126:127], v[48:49], s[6:7], v[106:107]
	;; [unrolled: 1-line block ×5, first 2 shown]
	v_mul_f64 v[72:73], v[60:61], s[6:7]
	v_mul_f64 v[60:61], v[60:61], 0.5
	v_fma_f64 v[114:115], v[150:151], s[4:5], v[114:115]
	v_mul_f64 v[76:77], v[96:97], s[6:7]
	v_mul_f64 v[80:81], v[96:97], -0.5
	v_add_f64 v[16:17], v[116:117], v[34:35]
	v_add_f64 v[20:21], v[116:117], -v[34:35]
	v_fma_f64 v[116:117], v[168:169], s[6:7], v[58:59]
	v_add_f64 v[34:35], v[38:39], v[82:83]
	v_add_f64 v[38:39], v[38:39], -v[82:83]
	v_mul_f64 v[82:83], v[40:41], s[6:7]
	v_mul_f64 v[40:41], v[40:41], 0.5
	v_fma_f64 v[58:59], v[168:169], s[4:5], v[58:59]
	v_mul_f64 v[90:91], v[122:123], s[6:7]
	v_mul_f64 v[96:97], v[122:123], -0.5
	v_mul_f64 v[122:123], v[46:47], s[6:7]
	v_mul_f64 v[46:47], v[46:47], 0.5
	v_mul_f64 v[138:139], v[50:51], s[6:7]
	v_mul_f64 v[50:51], v[50:51], -0.5
	v_fma_f64 v[120:121], v[136:137], s[4:5], v[146:147]
	v_fma_f64 v[136:137], v[136:137], s[6:7], v[146:147]
	v_mul_f64 v[146:147], v[44:45], s[6:7]
	v_mul_f64 v[44:45], v[44:45], 0.5
	v_mul_f64 v[148:149], v[52:53], s[6:7]
	v_mul_f64 v[52:53], v[52:53], -0.5
	v_fma_f64 v[54:55], v[88:89], 0.5, v[54:55]
	v_fma_f64 v[56:57], v[88:89], s[4:5], v[56:57]
	v_fma_f64 v[64:65], v[92:93], -0.5, v[64:65]
	v_fma_f64 v[70:71], v[92:93], s[4:5], v[70:71]
	v_fma_f64 v[94:95], v[68:69], s[6:7], v[198:199]
	v_fma_f64 v[72:73], v[66:67], 0.5, v[72:73]
	v_fma_f64 v[60:61], v[66:67], s[4:5], v[60:61]
	v_fma_f64 v[68:69], v[68:69], s[4:5], v[198:199]
	v_fma_f64 v[66:67], v[114:115], -0.5, v[76:77]
	v_fma_f64 v[76:77], v[114:115], s[4:5], v[80:81]
	v_fma_f64 v[80:81], v[116:117], 0.5, v[82:83]
	v_fma_f64 v[82:83], v[116:117], s[4:5], v[40:41]
	v_fma_f64 v[88:89], v[58:59], -0.5, v[90:91]
	v_fma_f64 v[90:91], v[58:59], s[4:5], v[96:97]
	v_fma_f64 v[92:93], v[74:75], 0.5, v[122:123]
	v_fma_f64 v[96:97], v[74:75], s[4:5], v[46:47]
	v_fma_f64 v[114:115], v[42:43], -0.5, v[138:139]
	v_fma_f64 v[116:117], v[42:43], s[4:5], v[50:51]
	s_barrier
	buffer_gl0_inv
	ds_write_b128 v113, v[0:3]
	ds_write_b128 v113, v[4:7] offset:4800
	v_fma_f64 v[122:123], v[48:49], 0.5, v[146:147]
	v_fma_f64 v[138:139], v[48:49], s[4:5], v[44:45]
	v_fma_f64 v[146:147], v[62:63], -0.5, v[148:149]
	v_fma_f64 v[148:149], v[62:63], s[4:5], v[52:53]
	v_add_f64 v[0:1], v[140:141], v[54:55]
	v_add_f64 v[2:3], v[142:143], v[56:57]
	v_add_f64 v[40:41], v[84:85], v[64:65]
	v_add_f64 v[42:43], v[86:87], v[70:71]
	v_add_f64 v[4:5], v[140:141], -v[54:55]
	v_add_f64 v[6:7], v[142:143], -v[56:57]
	v_add_f64 v[44:45], v[84:85], -v[64:65]
	v_add_f64 v[46:47], v[86:87], -v[70:71]
	v_add_f64 v[48:49], v[94:95], v[72:73]
	v_add_f64 v[50:51], v[98:99], v[60:61]
	v_add_f64 v[56:57], v[68:69], v[66:67]
	v_add_f64 v[58:59], v[78:79], v[76:77]
	v_add_f64 v[52:53], v[94:95], -v[72:73]
	v_add_f64 v[54:55], v[98:99], -v[60:61]
	v_add_f64 v[60:61], v[68:69], -v[66:67]
	v_add_f64 v[62:63], v[78:79], -v[76:77]
	;; [unrolled: 8-line block ×4, first 2 shown]
	v_add_f64 v[96:97], v[130:131], v[122:123]
	v_add_f64 v[98:99], v[144:145], v[138:139]
	v_add_f64 v[106:107], v[130:131], -v[122:123]
	v_add_f64 v[108:109], v[144:145], -v[138:139]
	v_add_f64 v[114:115], v[132:133], v[146:147]
	v_add_f64 v[116:117], v[134:135], v[148:149]
	v_add_f64 v[118:119], v[132:133], -v[146:147]
	v_add_f64 v[120:121], v[134:135], -v[148:149]
	ds_write_b128 v113, v[0:3] offset:1600
	ds_write_b128 v113, v[40:43] offset:3200
	ds_write_b128 v113, v[4:7] offset:6400
	ds_write_b128 v113, v[44:47] offset:8000
	ds_write_b128 v219, v[8:11]
	ds_write_b128 v219, v[48:51] offset:1600
	ds_write_b128 v219, v[56:59] offset:3200
	ds_write_b128 v219, v[12:15] offset:4800
	ds_write_b128 v219, v[52:55] offset:6400
	ds_write_b128 v219, v[60:63] offset:8000
	ds_write_b128 v222, v[16:19]
	ds_write_b128 v222, v[64:67] offset:1600
	;; [unrolled: 6-line block ×4, first 2 shown]
	ds_write_b128 v104, v[114:117] offset:3200
	ds_write_b128 v104, v[36:39] offset:4800
	;; [unrolled: 1-line block ×4, first 2 shown]
	s_waitcnt lgkmcnt(0)
	s_barrier
	buffer_gl0_inv
	s_clause 0x1
	global_load_dwordx4 v[0:3], v[100:101], off offset:1248
	global_load_dwordx4 v[92:95], v[102:103], off offset:16
	v_add_co_u32 v4, s0, 0x4800, v111
	v_add_co_ci_u32_e64 v5, s0, 0, v110, s0
	v_add_co_u32 v6, s0, 0x4a60, v111
	v_add_co_ci_u32_e64 v7, s0, 0, v110, s0
	v_add_co_u32 v8, s0, 0x6800, v111
	s_clause 0x3
	global_load_dwordx4 v[88:91], v[102:103], off offset:32
	global_load_dwordx4 v[84:87], v[102:103], off offset:48
	global_load_dwordx4 v[80:83], v[100:101], off offset:1312
	global_load_dwordx4 v[76:79], v[4:5], off offset:608
	v_add_co_ci_u32_e64 v9, s0, 0, v110, s0
	v_add_co_u32 v10, s0, 0x6fe0, v111
	s_clause 0x1
	global_load_dwordx4 v[72:75], v[6:7], off offset:16
	global_load_dwordx4 v[56:59], v[6:7], off offset:32
	v_add_co_ci_u32_e64 v11, s0, 0, v110, s0
	s_clause 0x1
	global_load_dwordx4 v[44:47], v[6:7], off offset:48
	global_load_dwordx4 v[24:27], v[4:5], off offset:672
	v_add_co_u32 v4, s0, 0x7000, v111
	v_add_co_ci_u32_e64 v5, s0, 0, v110, s0
	v_add_co_u32 v6, s0, 0x9000, v111
	v_add_nc_u32_e32 v12, 0x9600, v112
	v_add_co_ci_u32_e64 v7, s0, 0, v110, s0
	s_clause 0x1
	global_load_dwordx4 v[28:31], v[8:9], off offset:2016
	global_load_dwordx4 v[20:23], v[10:11], off offset:16
	v_add_co_u32 v8, s0, 0x9560, v111
	v_add_co_ci_u32_e64 v9, s0, 0, v110, s0
	s_clause 0x1
	global_load_dwordx4 v[32:35], v[10:11], off offset:32
	global_load_dwordx4 v[16:19], v[10:11], off offset:48
	v_add_co_u32 v10, s0, s8, v12
	v_add_co_ci_u32_e64 v11, null, s9, 0, s0
	s_clause 0x1
	global_load_dwordx4 v[40:43], v[4:5], off offset:32
	global_load_dwordx4 v[36:39], v[6:7], off offset:1376
	v_add_co_u32 v4, s0, 0x2000, v10
	v_add_co_ci_u32_e64 v5, s0, 0, v11, s0
	s_clause 0x3
	global_load_dwordx4 v[52:55], v[8:9], off offset:16
	global_load_dwordx4 v[48:51], v[8:9], off offset:32
	;; [unrolled: 1-line block ×4, first 2 shown]
	v_add_co_u32 v6, s0, 0x24e0, v10
	v_add_co_ci_u32_e64 v7, s0, 0, v11, s0
	s_clause 0x4
	global_load_dwordx4 v[68:71], v[4:5], off offset:1248
	global_load_dwordx4 v[98:101], v[6:7], off offset:16
	;; [unrolled: 1-line block ×5, first 2 shown]
	ds_read_b128 v[190:193], v224 offset:9600
	ds_read_b128 v[4:7], v224 offset:7680
	;; [unrolled: 1-line block ×26, first 2 shown]
	ds_read_b128 v[8:11], v224
	ds_read_b128 v[12:15], v224 offset:1920
	s_waitcnt vmcnt(24) lgkmcnt(27)
	v_mul_f64 v[225:226], v[192:193], v[2:3]
	v_mul_f64 v[2:3], v[190:191], v[2:3]
	s_waitcnt vmcnt(23) lgkmcnt(25)
	v_mul_f64 v[227:228], v[208:209], v[94:95]
	v_mul_f64 v[229:230], v[206:207], v[94:95]
	ds_read_b128 v[102:105], v224 offset:3840
	ds_read_b128 v[94:97], v224 offset:5760
	s_waitcnt vmcnt(0) lgkmcnt(0)
	s_barrier
	buffer_gl0_inv
	v_mul_f64 v[233:234], v[188:189], v[86:87]
	v_mul_f64 v[231:232], v[196:197], v[90:91]
	;; [unrolled: 1-line block ×9, first 2 shown]
	v_fma_f64 v[190:191], v[190:191], v[0:1], v[225:226]
	v_fma_f64 v[0:1], v[192:193], v[0:1], -v[2:3]
	v_mul_f64 v[2:3], v[142:143], v[74:75]
	v_mul_f64 v[74:75], v[160:161], v[58:59]
	;; [unrolled: 1-line block ×5, first 2 shown]
	v_fma_f64 v[206:207], v[206:207], v[92:93], v[227:228]
	v_fma_f64 v[92:93], v[208:209], v[92:93], -v[229:230]
	v_mul_f64 v[208:209], v[148:149], v[26:27]
	v_mul_f64 v[26:27], v[146:147], v[26:27]
	v_mul_f64 v[225:226], v[132:133], v[30:31]
	v_fma_f64 v[194:195], v[194:195], v[88:89], v[231:232]
	v_fma_f64 v[88:89], v[196:197], v[88:89], -v[90:91]
	v_mul_f64 v[30:31], v[130:131], v[30:31]
	v_mul_f64 v[90:91], v[156:157], v[22:23]
	v_mul_f64 v[22:23], v[154:155], v[22:23]
	v_mul_f64 v[196:197], v[128:129], v[34:35]
	v_fma_f64 v[186:187], v[186:187], v[84:85], v[233:234]
	v_fma_f64 v[84:85], v[188:189], v[84:85], -v[86:87]
	v_mul_f64 v[34:35], v[126:127], v[34:35]
	v_mul_f64 v[86:87], v[168:169], v[18:19]
	v_mul_f64 v[18:19], v[166:167], v[18:19]
	v_mul_f64 v[188:189], v[140:141], v[42:43]
	v_fma_f64 v[178:179], v[178:179], v[80:81], v[235:236]
	v_fma_f64 v[80:81], v[180:181], v[80:81], -v[82:83]
	v_mul_f64 v[42:43], v[138:139], v[42:43]
	v_mul_f64 v[82:83], v[184:185], v[38:39]
	v_mul_f64 v[38:39], v[182:183], v[38:39]
	v_mul_f64 v[180:181], v[152:153], v[54:55]
	v_fma_f64 v[174:175], v[174:175], v[76:77], v[237:238]
	v_fma_f64 v[76:77], v[176:177], v[76:77], -v[78:79]
	v_mul_f64 v[54:55], v[150:151], v[54:55]
	v_mul_f64 v[78:79], v[200:201], v[50:51]
	v_mul_f64 v[50:51], v[198:199], v[50:51]
	v_mul_f64 v[176:177], v[164:165], v[66:67]
	v_fma_f64 v[142:143], v[142:143], v[72:73], v[239:240]
	v_fma_f64 v[2:3], v[144:145], v[72:73], -v[2:3]
	v_mul_f64 v[66:67], v[162:163], v[66:67]
	v_mul_f64 v[72:73], v[216:217], v[62:63]
	v_mul_f64 v[62:63], v[214:215], v[62:63]
	v_mul_f64 v[144:145], v[172:173], v[70:71]
	v_fma_f64 v[74:75], v[158:159], v[56:57], v[74:75]
	v_fma_f64 v[56:57], v[160:161], v[56:57], -v[58:59]
	v_mul_f64 v[58:59], v[170:171], v[70:71]
	v_mul_f64 v[70:71], v[120:121], v[100:101]
	v_mul_f64 v[100:101], v[118:119], v[100:101]
	v_fma_f64 v[134:135], v[134:135], v[44:45], v[192:193]
	v_fma_f64 v[44:45], v[136:137], v[44:45], -v[46:47]
	v_mul_f64 v[46:47], v[202:203], v[112:113]
	v_mul_f64 v[158:159], v[204:205], v[112:113]
	v_fma_f64 v[146:147], v[146:147], v[24:25], v[208:209]
	v_fma_f64 v[24:25], v[148:149], v[24:25], -v[26:27]
	v_mul_f64 v[26:27], v[210:211], v[116:117]
	v_mul_f64 v[112:113], v[124:125], v[108:109]
	;; [unrolled: 1-line block ×4, first 2 shown]
	v_fma_f64 v[116:117], v[130:131], v[28:29], v[225:226]
	v_fma_f64 v[28:29], v[132:133], v[28:29], -v[30:31]
	v_fma_f64 v[30:31], v[154:155], v[20:21], v[90:91]
	v_fma_f64 v[20:21], v[156:157], v[20:21], -v[22:23]
	;; [unrolled: 2-line block ×12, first 2 shown]
	v_fma_f64 v[46:47], v[204:205], v[110:111], -v[46:47]
	v_fma_f64 v[72:73], v[202:203], v[110:111], v[158:159]
	v_fma_f64 v[26:27], v[212:213], v[114:115], -v[26:27]
	v_fma_f64 v[78:79], v[122:123], v[106:107], v[112:113]
	;; [unrolled: 2-line block ×3, first 2 shown]
	v_add_f64 v[90:91], v[206:207], v[186:187]
	v_add_f64 v[98:99], v[92:93], v[84:85]
	;; [unrolled: 1-line block ×26, first 2 shown]
	v_add_f64 v[184:185], v[2:3], -v[44:45]
	v_add_f64 v[2:3], v[22:23], v[18:19]
	v_add_f64 v[188:189], v[22:23], -v[18:19]
	v_add_f64 v[22:23], v[32:33], v[40:41]
	v_add_f64 v[160:161], v[4:5], v[68:69]
	;; [unrolled: 1-line block ×4, first 2 shown]
	v_add_f64 v[170:171], v[194:195], -v[178:179]
	v_add_f64 v[194:195], v[30:31], -v[34:35]
	v_add_f64 v[30:31], v[48:49], v[60:61]
	v_add_f64 v[140:141], v[38:39], v[50:51]
	v_add_f64 v[192:193], v[20:21], -v[16:17]
	v_add_f64 v[20:21], v[54:55], v[66:67]
	v_add_f64 v[198:199], v[38:39], -v[50:51]
	;; [unrolled: 2-line block ×3, first 2 shown]
	v_fma_f64 v[90:91], v[90:91], -0.5, v[8:9]
	v_fma_f64 v[98:99], v[98:99], -0.5, v[10:11]
	;; [unrolled: 1-line block ×4, first 2 shown]
	v_add_f64 v[8:9], v[100:101], v[186:187]
	v_add_f64 v[10:11], v[106:107], v[84:85]
	;; [unrolled: 1-line block ×5, first 2 shown]
	v_fma_f64 v[100:101], v[126:127], -0.5, v[102:103]
	v_fma_f64 v[102:103], v[128:129], -0.5, v[104:105]
	v_add_f64 v[104:105], v[132:133], v[16:17]
	v_add_f64 v[40:41], v[138:139], v[40:41]
	v_fma_f64 v[120:121], v[172:173], -0.5, v[0:1]
	v_add_f64 v[144:145], v[52:53], v[64:65]
	v_add_f64 v[156:157], v[68:69], v[78:79]
	;; [unrolled: 1-line block ×3, first 2 shown]
	v_add_f64 v[52:53], v[52:53], -v[64:65]
	v_add_f64 v[48:49], v[48:49], -v[60:61]
	v_add_f64 v[64:65], v[150:151], v[64:65]
	v_add_f64 v[60:61], v[154:155], v[60:61]
	v_add_f64 v[92:93], v[92:93], -v[84:85]
	v_add_f64 v[88:89], v[88:89], -v[80:81]
	;; [unrolled: 1-line block ×3, first 2 shown]
	v_add_f64 v[80:81], v[118:119], v[134:135]
	v_add_f64 v[84:85], v[122:123], v[146:147]
	;; [unrolled: 1-line block ×4, first 2 shown]
	v_add_f64 v[74:75], v[74:75], -v[146:147]
	v_add_f64 v[70:71], v[70:71], -v[82:83]
	v_add_f64 v[34:35], v[130:131], v[34:35]
	v_add_f64 v[106:107], v[136:137], v[18:19]
	;; [unrolled: 1-line block ×4, first 2 shown]
	v_fma_f64 v[76:77], v[182:183], -0.5, v[76:77]
	v_add_f64 v[54:55], v[54:55], -v[66:67]
	v_add_f64 v[50:51], v[148:149], v[50:51]
	v_add_f64 v[66:67], v[152:153], v[66:67]
	v_fma_f64 v[126:127], v[22:23], -0.5, v[28:29]
	v_add_f64 v[32:33], v[72:73], v[86:87]
	v_add_f64 v[72:73], v[72:73], -v[86:87]
	v_add_f64 v[68:69], v[68:69], -v[78:79]
	v_add_f64 v[78:79], v[160:161], v[78:79]
	v_add_f64 v[86:87], v[164:165], v[86:87]
	v_add_f64 v[176:177], v[206:207], -v[186:187]
	v_add_f64 v[142:143], v[142:143], -v[134:135]
	v_fma_f64 v[122:123], v[168:169], -0.5, v[190:191]
	v_fma_f64 v[116:117], v[2:3], -0.5, v[116:117]
	;; [unrolled: 1-line block ×5, first 2 shown]
	v_add_f64 v[0:1], v[8:9], v[12:13]
	v_add_f64 v[2:3], v[10:11], v[14:15]
	;; [unrolled: 1-line block ×3, first 2 shown]
	v_add_f64 v[22:23], v[104:105], -v[40:41]
	v_fma_f64 v[40:41], v[170:171], s[4:5], v[120:121]
	v_add_f64 v[46:47], v[46:47], -v[26:27]
	v_fma_f64 v[108:109], v[156:157], -0.5, v[4:5]
	v_fma_f64 v[110:111], v[158:159], -0.5, v[6:7]
	v_add_f64 v[4:5], v[8:9], -v[12:13]
	v_add_f64 v[6:7], v[10:11], -v[14:15]
	v_add_f64 v[26:27], v[64:65], v[60:61]
	v_add_f64 v[30:31], v[64:65], -v[60:61]
	v_fma_f64 v[64:65], v[170:171], s[6:7], v[120:121]
	v_add_f64 v[8:9], v[80:81], v[84:85]
	v_add_f64 v[10:11], v[44:45], v[24:25]
	v_add_f64 v[12:13], v[80:81], -v[84:85]
	v_add_f64 v[14:15], v[44:45], -v[24:25]
	v_fma_f64 v[124:125], v[180:181], -0.5, v[174:175]
	v_add_f64 v[16:17], v[34:35], v[106:107]
	v_add_f64 v[20:21], v[34:35], -v[106:107]
	v_add_f64 v[34:35], v[82:83], v[118:119]
	v_add_f64 v[38:39], v[82:83], -v[118:119]
	v_fma_f64 v[82:83], v[74:75], s[4:5], v[76:77]
	v_fma_f64 v[74:75], v[74:75], s[6:7], v[76:77]
	v_add_f64 v[24:25], v[50:51], v[66:67]
	v_add_f64 v[28:29], v[50:51], -v[66:67]
	v_fma_f64 v[50:51], v[92:93], s[6:7], v[90:91]
	v_fma_f64 v[66:67], v[92:93], s[4:5], v[90:91]
	;; [unrolled: 1-line block ×3, first 2 shown]
	v_fma_f64 v[62:63], v[32:33], -0.5, v[62:63]
	v_add_f64 v[32:33], v[78:79], v[86:87]
	v_add_f64 v[36:37], v[78:79], -v[86:87]
	v_fma_f64 v[86:87], v[184:185], s[6:7], v[112:113]
	v_fma_f64 v[76:77], v[184:185], s[4:5], v[112:113]
	;; [unrolled: 1-line block ×3, first 2 shown]
	v_fma_f64 v[94:95], v[140:141], -0.5, v[94:95]
	v_fma_f64 v[44:45], v[88:89], s[6:7], v[122:123]
	v_fma_f64 v[60:61], v[176:177], s[4:5], v[98:99]
	;; [unrolled: 1-line block ×14, first 2 shown]
	ds_write_b128 v224, v[0:3]
	ds_write_b128 v224, v[4:7] offset:28800
	ds_write_b128 v224, v[8:11] offset:1920
	;; [unrolled: 1-line block ×3, first 2 shown]
	v_mul_f64 v[0:1], v[40:41], s[6:7]
	v_mul_f64 v[2:3], v[40:41], 0.5
	v_mul_f64 v[4:5], v[64:65], s[6:7]
	v_mul_f64 v[6:7], v[64:65], -0.5
	v_fma_f64 v[84:85], v[56:57], s[6:7], v[124:125]
	v_mul_f64 v[8:9], v[82:83], s[6:7]
	v_mul_f64 v[10:11], v[82:83], 0.5
	v_fma_f64 v[56:57], v[56:57], s[4:5], v[124:125]
	v_mul_f64 v[12:13], v[74:75], s[6:7]
	v_mul_f64 v[14:15], v[74:75], -0.5
	ds_write_b128 v224, v[16:19] offset:3840
	ds_write_b128 v224, v[20:23] offset:32640
	v_mul_f64 v[16:17], v[92:93], s[6:7]
	v_mul_f64 v[18:19], v[92:93], 0.5
	v_mul_f64 v[20:21], v[112:113], s[6:7]
	v_mul_f64 v[22:23], v[112:113], -0.5
	v_fma_f64 v[96:97], v[144:145], -0.5, v[96:97]
	v_fma_f64 v[120:121], v[52:53], s[6:7], v[94:95]
	v_fma_f64 v[94:95], v[52:53], s[4:5], v[94:95]
	;; [unrolled: 1-line block ×4, first 2 shown]
	v_mul_f64 v[40:41], v[116:117], s[6:7]
	v_mul_f64 v[62:63], v[116:117], 0.5
	v_mul_f64 v[64:65], v[54:55], s[6:7]
	v_mul_f64 v[54:55], v[54:55], -0.5
	v_fma_f64 v[126:127], v[68:69], s[4:5], v[110:111]
	v_fma_f64 v[110:111], v[68:69], s[6:7], v[110:111]
	v_mul_f64 v[68:69], v[48:49], s[6:7]
	v_mul_f64 v[48:49], v[48:49], 0.5
	v_fma_f64 v[124:125], v[70:71], s[6:7], v[108:109]
	v_fma_f64 v[108:109], v[70:71], s[4:5], v[108:109]
	v_mul_f64 v[70:71], v[58:59], s[6:7]
	v_mul_f64 v[58:59], v[58:59], -0.5
	v_fma_f64 v[72:73], v[44:45], 0.5, v[0:1]
	v_fma_f64 v[44:45], v[44:45], s[4:5], v[2:3]
	ds_write_b128 v224, v[24:27] offset:5760
	ds_write_b128 v224, v[28:31] offset:34560
	v_fma_f64 v[24:25], v[80:81], -0.5, v[4:5]
	v_fma_f64 v[26:27], v[80:81], s[4:5], v[6:7]
	v_fma_f64 v[28:29], v[84:85], 0.5, v[8:9]
	v_fma_f64 v[30:31], v[84:85], s[4:5], v[10:11]
	v_fma_f64 v[74:75], v[56:57], -0.5, v[12:13]
	v_fma_f64 v[56:57], v[56:57], s[4:5], v[14:15]
	v_fma_f64 v[104:105], v[192:193], s[6:7], v[100:101]
	;; [unrolled: 1-line block ×3, first 2 shown]
	v_fma_f64 v[80:81], v[98:99], 0.5, v[16:17]
	v_fma_f64 v[82:83], v[98:99], s[4:5], v[18:19]
	v_fma_f64 v[100:101], v[192:193], s[4:5], v[100:101]
	;; [unrolled: 1-line block ×3, first 2 shown]
	v_fma_f64 v[84:85], v[114:115], -0.5, v[20:21]
	v_fma_f64 v[92:93], v[114:115], s[4:5], v[22:23]
	v_fma_f64 v[122:123], v[198:199], s[4:5], v[96:97]
	v_fma_f64 v[98:99], v[118:119], 0.5, v[40:41]
	v_fma_f64 v[62:63], v[118:119], s[4:5], v[62:63]
	v_fma_f64 v[96:97], v[198:199], s[6:7], v[96:97]
	v_fma_f64 v[112:113], v[42:43], -0.5, v[64:65]
	v_fma_f64 v[114:115], v[42:43], s[4:5], v[54:55]
	v_fma_f64 v[116:117], v[52:53], 0.5, v[68:69]
	v_fma_f64 v[118:119], v[52:53], s[4:5], v[48:49]
	v_fma_f64 v[128:129], v[46:47], -0.5, v[70:71]
	v_fma_f64 v[130:131], v[46:47], s[4:5], v[58:59]
	v_add_f64 v[0:1], v[50:51], v[72:73]
	v_add_f64 v[2:3], v[60:61], v[44:45]
	v_add_f64 v[8:9], v[66:67], v[24:25]
	v_add_f64 v[10:11], v[78:79], v[26:27]
	v_add_f64 v[4:5], v[50:51], -v[72:73]
	v_add_f64 v[6:7], v[60:61], -v[44:45]
	v_add_f64 v[12:13], v[66:67], -v[24:25]
	v_add_f64 v[14:15], v[78:79], -v[26:27]
	v_add_f64 v[16:17], v[86:87], v[28:29]
	v_add_f64 v[18:19], v[88:89], v[30:31]
	v_add_f64 v[24:25], v[76:77], v[74:75]
	v_add_f64 v[26:27], v[90:91], v[56:57]
	v_add_f64 v[20:21], v[86:87], -v[28:29]
	v_add_f64 v[22:23], v[88:89], -v[30:31]
	v_add_f64 v[28:29], v[76:77], -v[74:75]
	v_add_f64 v[30:31], v[90:91], -v[56:57]
	;; [unrolled: 8-line block ×5, first 2 shown]
	ds_write_b128 v224, v[32:35] offset:7680
	ds_write_b128 v224, v[36:39] offset:36480
	;; [unrolled: 1-line block ×22, first 2 shown]
	s_waitcnt lgkmcnt(0)
	s_barrier
	buffer_gl0_inv
	s_and_saveexec_b32 s0, vcc_lo
	s_cbranch_execz .LBB0_19
; %bb.18:
	v_lshl_add_u32 v26, v218, 4, 0
	v_mov_b32_e32 v219, v223
	v_add_nc_u32_e32 v222, 0x78, v218
	v_add_co_u32 v30, vcc_lo, s2, v220
	ds_read_b128 v[0:3], v26
	v_lshlrev_b64 v[18:19], 4, v[218:219]
	v_lshlrev_b64 v[16:17], 4, v[222:223]
	v_add_nc_u32_e32 v222, 0xf0, v218
	ds_read_b128 v[4:7], v26 offset:1920
	ds_read_b128 v[8:11], v26 offset:3840
	;; [unrolled: 1-line block ×3, first 2 shown]
	v_add_co_ci_u32_e32 v31, vcc_lo, s3, v221, vcc_lo
	v_add_co_u32 v18, vcc_lo, v30, v18
	v_lshlrev_b64 v[20:21], 4, v[222:223]
	v_add_nc_u32_e32 v222, 0x168, v218
	v_add_co_ci_u32_e32 v19, vcc_lo, v31, v19, vcc_lo
	v_add_co_u32 v16, vcc_lo, v30, v16
	v_lshlrev_b64 v[22:23], 4, v[222:223]
	v_add_co_ci_u32_e32 v17, vcc_lo, v31, v17, vcc_lo
	v_add_nc_u32_e32 v222, 0x1e0, v218
	s_waitcnt lgkmcnt(3)
	global_store_dwordx4 v[18:19], v[0:3], off
	v_add_co_u32 v0, vcc_lo, v30, v20
	v_add_co_ci_u32_e32 v1, vcc_lo, v31, v21, vcc_lo
	v_add_co_u32 v2, vcc_lo, v30, v22
	v_add_co_ci_u32_e32 v3, vcc_lo, v31, v23, vcc_lo
	s_waitcnt lgkmcnt(2)
	global_store_dwordx4 v[16:17], v[4:7], off
	v_lshlrev_b64 v[16:17], 4, v[222:223]
	v_add_nc_u32_e32 v222, 0x258, v218
	s_waitcnt lgkmcnt(1)
	global_store_dwordx4 v[0:1], v[8:11], off
	s_waitcnt lgkmcnt(0)
	global_store_dwordx4 v[2:3], v[12:15], off
	ds_read_b128 v[0:3], v26 offset:7680
	ds_read_b128 v[4:7], v26 offset:9600
	;; [unrolled: 1-line block ×3, first 2 shown]
	v_lshlrev_b64 v[12:13], 4, v[222:223]
	v_add_nc_u32_e32 v222, 0x2d0, v218
	v_add_co_u32 v14, vcc_lo, v30, v16
	v_add_co_ci_u32_e32 v15, vcc_lo, v31, v17, vcc_lo
	v_lshlrev_b64 v[16:17], 4, v[222:223]
	v_add_co_u32 v12, vcc_lo, v30, v12
	v_add_co_ci_u32_e32 v13, vcc_lo, v31, v13, vcc_lo
	v_add_nc_u32_e32 v222, 0x348, v218
	v_add_co_u32 v16, vcc_lo, v30, v16
	v_add_co_ci_u32_e32 v17, vcc_lo, v31, v17, vcc_lo
	v_lshlrev_b64 v[18:19], 4, v[222:223]
	v_add_nc_u32_e32 v222, 0x3c0, v218
	s_waitcnt lgkmcnt(2)
	global_store_dwordx4 v[14:15], v[0:3], off
	s_waitcnt lgkmcnt(1)
	global_store_dwordx4 v[12:13], v[4:7], off
	;; [unrolled: 2-line block ×3, first 2 shown]
	ds_read_b128 v[0:3], v26 offset:13440
	ds_read_b128 v[4:7], v26 offset:15360
	;; [unrolled: 1-line block ×3, first 2 shown]
	v_lshlrev_b64 v[12:13], 4, v[222:223]
	v_add_nc_u32_e32 v222, 0x438, v218
	v_add_co_u32 v14, vcc_lo, v30, v18
	v_add_co_ci_u32_e32 v15, vcc_lo, v31, v19, vcc_lo
	v_lshlrev_b64 v[16:17], 4, v[222:223]
	v_add_co_u32 v12, vcc_lo, v30, v12
	v_add_co_ci_u32_e32 v13, vcc_lo, v31, v13, vcc_lo
	v_add_nc_u32_e32 v222, 0x4b0, v218
	v_add_co_u32 v16, vcc_lo, v30, v16
	v_add_co_ci_u32_e32 v17, vcc_lo, v31, v17, vcc_lo
	s_waitcnt lgkmcnt(2)
	global_store_dwordx4 v[14:15], v[0:3], off
	v_lshlrev_b64 v[14:15], 4, v[222:223]
	v_add_nc_u32_e32 v222, 0x528, v218
	s_waitcnt lgkmcnt(1)
	global_store_dwordx4 v[12:13], v[4:7], off
	s_waitcnt lgkmcnt(0)
	global_store_dwordx4 v[16:17], v[8:11], off
	ds_read_b128 v[0:3], v26 offset:19200
	ds_read_b128 v[4:7], v26 offset:21120
	ds_read_b128 v[8:11], v26 offset:23040
	v_lshlrev_b64 v[12:13], 4, v[222:223]
	v_add_nc_u32_e32 v222, 0x5a0, v218
	v_add_co_u32 v14, vcc_lo, v30, v14
	v_add_co_ci_u32_e32 v15, vcc_lo, v31, v15, vcc_lo
	v_lshlrev_b64 v[16:17], 4, v[222:223]
	v_add_co_u32 v12, vcc_lo, v30, v12
	v_add_co_ci_u32_e32 v13, vcc_lo, v31, v13, vcc_lo
	v_add_nc_u32_e32 v222, 0x618, v218
	v_add_co_u32 v16, vcc_lo, v30, v16
	v_add_co_ci_u32_e32 v17, vcc_lo, v31, v17, vcc_lo
	s_waitcnt lgkmcnt(2)
	global_store_dwordx4 v[14:15], v[0:3], off
	s_waitcnt lgkmcnt(1)
	global_store_dwordx4 v[12:13], v[4:7], off
	v_lshlrev_b64 v[18:19], 4, v[222:223]
	v_add_nc_u32_e32 v222, 0x690, v218
	ds_read_b128 v[0:3], v26 offset:24960
	s_waitcnt lgkmcnt(1)
	global_store_dwordx4 v[16:17], v[8:11], off
	ds_read_b128 v[4:7], v26 offset:26880
	ds_read_b128 v[8:11], v26 offset:28800
	v_lshlrev_b64 v[12:13], 4, v[222:223]
	v_add_nc_u32_e32 v222, 0x708, v218
	v_add_co_u32 v14, vcc_lo, v30, v18
	v_add_co_ci_u32_e32 v15, vcc_lo, v31, v19, vcc_lo
	v_lshlrev_b64 v[16:17], 4, v[222:223]
	v_add_co_u32 v12, vcc_lo, v30, v12
	v_add_co_ci_u32_e32 v13, vcc_lo, v31, v13, vcc_lo
	v_add_nc_u32_e32 v222, 0x780, v218
	v_add_co_u32 v16, vcc_lo, v30, v16
	v_add_co_ci_u32_e32 v17, vcc_lo, v31, v17, vcc_lo
	s_waitcnt lgkmcnt(2)
	global_store_dwordx4 v[14:15], v[0:3], off
	v_lshlrev_b64 v[14:15], 4, v[222:223]
	v_add_nc_u32_e32 v222, 0x7f8, v218
	s_waitcnt lgkmcnt(1)
	global_store_dwordx4 v[12:13], v[4:7], off
	s_waitcnt lgkmcnt(0)
	global_store_dwordx4 v[16:17], v[8:11], off
	ds_read_b128 v[0:3], v26 offset:30720
	ds_read_b128 v[4:7], v26 offset:32640
	;; [unrolled: 1-line block ×3, first 2 shown]
	v_lshlrev_b64 v[12:13], 4, v[222:223]
	v_add_nc_u32_e32 v222, 0x870, v218
	v_add_co_u32 v14, vcc_lo, v30, v14
	v_add_co_ci_u32_e32 v15, vcc_lo, v31, v15, vcc_lo
	v_lshlrev_b64 v[16:17], 4, v[222:223]
	v_add_co_u32 v12, vcc_lo, v30, v12
	v_add_co_ci_u32_e32 v13, vcc_lo, v31, v13, vcc_lo
	v_add_nc_u32_e32 v222, 0x8e8, v218
	v_add_co_u32 v16, vcc_lo, v30, v16
	v_add_co_ci_u32_e32 v17, vcc_lo, v31, v17, vcc_lo
	v_lshlrev_b64 v[18:19], 4, v[222:223]
	v_add_nc_u32_e32 v222, 0x960, v218
	s_waitcnt lgkmcnt(2)
	global_store_dwordx4 v[14:15], v[0:3], off
	s_waitcnt lgkmcnt(1)
	global_store_dwordx4 v[12:13], v[4:7], off
	;; [unrolled: 2-line block ×3, first 2 shown]
	ds_read_b128 v[0:3], v26 offset:36480
	ds_read_b128 v[4:7], v26 offset:38400
	;; [unrolled: 1-line block ×3, first 2 shown]
	v_lshlrev_b64 v[12:13], 4, v[222:223]
	v_add_nc_u32_e32 v222, 0x9d8, v218
	v_add_co_u32 v14, vcc_lo, v30, v18
	v_add_co_ci_u32_e32 v15, vcc_lo, v31, v19, vcc_lo
	v_lshlrev_b64 v[16:17], 4, v[222:223]
	v_add_co_u32 v12, vcc_lo, v30, v12
	v_add_co_ci_u32_e32 v13, vcc_lo, v31, v13, vcc_lo
	v_add_nc_u32_e32 v222, 0xa50, v218
	v_add_co_u32 v16, vcc_lo, v30, v16
	v_add_co_ci_u32_e32 v17, vcc_lo, v31, v17, vcc_lo
	s_waitcnt lgkmcnt(2)
	global_store_dwordx4 v[14:15], v[0:3], off
	s_waitcnt lgkmcnt(1)
	global_store_dwordx4 v[12:13], v[4:7], off
	;; [unrolled: 2-line block ×3, first 2 shown]
	v_lshlrev_b64 v[14:15], 4, v[222:223]
	v_add_nc_u32_e32 v222, 0xac8, v218
	ds_read_b128 v[0:3], v26 offset:42240
	ds_read_b128 v[4:7], v26 offset:44160
	;; [unrolled: 1-line block ×3, first 2 shown]
	v_lshlrev_b64 v[12:13], 4, v[222:223]
	v_add_nc_u32_e32 v222, 0xb40, v218
	v_add_co_u32 v14, vcc_lo, v30, v14
	v_add_co_ci_u32_e32 v15, vcc_lo, v31, v15, vcc_lo
	v_lshlrev_b64 v[16:17], 4, v[222:223]
	v_add_nc_u32_e32 v222, 0xbb8, v218
	v_add_co_u32 v12, vcc_lo, v30, v12
	v_add_co_ci_u32_e32 v13, vcc_lo, v31, v13, vcc_lo
	v_lshlrev_b64 v[18:19], 4, v[222:223]
	v_add_nc_u32_e32 v222, 0xc30, v218
	v_add_co_u32 v16, vcc_lo, v30, v16
	s_waitcnt lgkmcnt(2)
	global_store_dwordx4 v[14:15], v[0:3], off
	s_waitcnt lgkmcnt(1)
	global_store_dwordx4 v[12:13], v[4:7], off
	v_add_co_ci_u32_e32 v17, vcc_lo, v31, v17, vcc_lo
	v_lshlrev_b64 v[4:5], 4, v[222:223]
	v_add_co_u32 v20, vcc_lo, v30, v18
	v_add_nc_u32_e32 v222, 0xca8, v218
	v_add_co_ci_u32_e32 v21, vcc_lo, v31, v19, vcc_lo
	v_add_co_u32 v22, vcc_lo, v30, v4
	s_waitcnt lgkmcnt(0)
	global_store_dwordx4 v[16:17], v[8:11], off
	ds_read_b128 v[0:3], v26 offset:48000
	v_add_co_ci_u32_e32 v23, vcc_lo, v31, v5, vcc_lo
	ds_read_b128 v[4:7], v26 offset:49920
	ds_read_b128 v[8:11], v26 offset:51840
	;; [unrolled: 1-line block ×4, first 2 shown]
	v_lshlrev_b64 v[24:25], 4, v[222:223]
	v_add_nc_u32_e32 v222, 0xd20, v218
	v_lshlrev_b64 v[26:27], 4, v[222:223]
	v_add_nc_u32_e32 v222, 0xd98, v218
	v_add_co_u32 v24, vcc_lo, v30, v24
	v_add_co_ci_u32_e32 v25, vcc_lo, v31, v25, vcc_lo
	v_lshlrev_b64 v[28:29], 4, v[222:223]
	v_add_co_u32 v26, vcc_lo, v30, v26
	v_add_co_ci_u32_e32 v27, vcc_lo, v31, v27, vcc_lo
	v_add_co_u32 v28, vcc_lo, v30, v28
	v_add_co_ci_u32_e32 v29, vcc_lo, v31, v29, vcc_lo
	s_waitcnt lgkmcnt(4)
	global_store_dwordx4 v[20:21], v[0:3], off
	s_waitcnt lgkmcnt(3)
	global_store_dwordx4 v[22:23], v[4:7], off
	;; [unrolled: 2-line block ×5, first 2 shown]
.LBB0_19:
	s_endpgm
	.section	.rodata,"a",@progbits
	.p2align	6, 0x0
	.amdhsa_kernel fft_rtc_back_len3600_factors_10_10_6_6_wgs_120_tpt_120_halfLds_dp_ip_CI_unitstride_sbrr_C2R_dirReg
		.amdhsa_group_segment_fixed_size 0
		.amdhsa_private_segment_fixed_size 0
		.amdhsa_kernarg_size 88
		.amdhsa_user_sgpr_count 6
		.amdhsa_user_sgpr_private_segment_buffer 1
		.amdhsa_user_sgpr_dispatch_ptr 0
		.amdhsa_user_sgpr_queue_ptr 0
		.amdhsa_user_sgpr_kernarg_segment_ptr 1
		.amdhsa_user_sgpr_dispatch_id 0
		.amdhsa_user_sgpr_flat_scratch_init 0
		.amdhsa_user_sgpr_private_segment_size 0
		.amdhsa_wavefront_size32 1
		.amdhsa_uses_dynamic_stack 0
		.amdhsa_system_sgpr_private_segment_wavefront_offset 0
		.amdhsa_system_sgpr_workgroup_id_x 1
		.amdhsa_system_sgpr_workgroup_id_y 0
		.amdhsa_system_sgpr_workgroup_id_z 0
		.amdhsa_system_sgpr_workgroup_info 0
		.amdhsa_system_vgpr_workitem_id 0
		.amdhsa_next_free_vgpr 254
		.amdhsa_next_free_sgpr 22
		.amdhsa_reserve_vcc 1
		.amdhsa_reserve_flat_scratch 0
		.amdhsa_float_round_mode_32 0
		.amdhsa_float_round_mode_16_64 0
		.amdhsa_float_denorm_mode_32 3
		.amdhsa_float_denorm_mode_16_64 3
		.amdhsa_dx10_clamp 1
		.amdhsa_ieee_mode 1
		.amdhsa_fp16_overflow 0
		.amdhsa_workgroup_processor_mode 1
		.amdhsa_memory_ordered 1
		.amdhsa_forward_progress 0
		.amdhsa_shared_vgpr_count 0
		.amdhsa_exception_fp_ieee_invalid_op 0
		.amdhsa_exception_fp_denorm_src 0
		.amdhsa_exception_fp_ieee_div_zero 0
		.amdhsa_exception_fp_ieee_overflow 0
		.amdhsa_exception_fp_ieee_underflow 0
		.amdhsa_exception_fp_ieee_inexact 0
		.amdhsa_exception_int_div_zero 0
	.end_amdhsa_kernel
	.text
.Lfunc_end0:
	.size	fft_rtc_back_len3600_factors_10_10_6_6_wgs_120_tpt_120_halfLds_dp_ip_CI_unitstride_sbrr_C2R_dirReg, .Lfunc_end0-fft_rtc_back_len3600_factors_10_10_6_6_wgs_120_tpt_120_halfLds_dp_ip_CI_unitstride_sbrr_C2R_dirReg
                                        ; -- End function
	.section	.AMDGPU.csdata,"",@progbits
; Kernel info:
; codeLenInByte = 24052
; NumSgprs: 24
; NumVgprs: 254
; ScratchSize: 0
; MemoryBound: 0
; FloatMode: 240
; IeeeMode: 1
; LDSByteSize: 0 bytes/workgroup (compile time only)
; SGPRBlocks: 2
; VGPRBlocks: 31
; NumSGPRsForWavesPerEU: 24
; NumVGPRsForWavesPerEU: 254
; Occupancy: 4
; WaveLimiterHint : 1
; COMPUTE_PGM_RSRC2:SCRATCH_EN: 0
; COMPUTE_PGM_RSRC2:USER_SGPR: 6
; COMPUTE_PGM_RSRC2:TRAP_HANDLER: 0
; COMPUTE_PGM_RSRC2:TGID_X_EN: 1
; COMPUTE_PGM_RSRC2:TGID_Y_EN: 0
; COMPUTE_PGM_RSRC2:TGID_Z_EN: 0
; COMPUTE_PGM_RSRC2:TIDIG_COMP_CNT: 0
	.text
	.p2alignl 6, 3214868480
	.fill 48, 4, 3214868480
	.type	__hip_cuid_70e239832ee9d0a0,@object ; @__hip_cuid_70e239832ee9d0a0
	.section	.bss,"aw",@nobits
	.globl	__hip_cuid_70e239832ee9d0a0
__hip_cuid_70e239832ee9d0a0:
	.byte	0                               ; 0x0
	.size	__hip_cuid_70e239832ee9d0a0, 1

	.ident	"AMD clang version 19.0.0git (https://github.com/RadeonOpenCompute/llvm-project roc-6.4.0 25133 c7fe45cf4b819c5991fe208aaa96edf142730f1d)"
	.section	".note.GNU-stack","",@progbits
	.addrsig
	.addrsig_sym __hip_cuid_70e239832ee9d0a0
	.amdgpu_metadata
---
amdhsa.kernels:
  - .args:
      - .actual_access:  read_only
        .address_space:  global
        .offset:         0
        .size:           8
        .value_kind:     global_buffer
      - .offset:         8
        .size:           8
        .value_kind:     by_value
      - .actual_access:  read_only
        .address_space:  global
        .offset:         16
        .size:           8
        .value_kind:     global_buffer
      - .actual_access:  read_only
        .address_space:  global
        .offset:         24
        .size:           8
        .value_kind:     global_buffer
      - .offset:         32
        .size:           8
        .value_kind:     by_value
      - .actual_access:  read_only
        .address_space:  global
        .offset:         40
        .size:           8
        .value_kind:     global_buffer
      - .actual_access:  read_only
        .address_space:  global
        .offset:         48
        .size:           8
        .value_kind:     global_buffer
      - .offset:         56
        .size:           4
        .value_kind:     by_value
      - .actual_access:  read_only
        .address_space:  global
        .offset:         64
        .size:           8
        .value_kind:     global_buffer
      - .actual_access:  read_only
        .address_space:  global
        .offset:         72
        .size:           8
        .value_kind:     global_buffer
      - .address_space:  global
        .offset:         80
        .size:           8
        .value_kind:     global_buffer
    .group_segment_fixed_size: 0
    .kernarg_segment_align: 8
    .kernarg_segment_size: 88
    .language:       OpenCL C
    .language_version:
      - 2
      - 0
    .max_flat_workgroup_size: 120
    .name:           fft_rtc_back_len3600_factors_10_10_6_6_wgs_120_tpt_120_halfLds_dp_ip_CI_unitstride_sbrr_C2R_dirReg
    .private_segment_fixed_size: 0
    .sgpr_count:     24
    .sgpr_spill_count: 0
    .symbol:         fft_rtc_back_len3600_factors_10_10_6_6_wgs_120_tpt_120_halfLds_dp_ip_CI_unitstride_sbrr_C2R_dirReg.kd
    .uniform_work_group_size: 1
    .uses_dynamic_stack: false
    .vgpr_count:     254
    .vgpr_spill_count: 0
    .wavefront_size: 32
    .workgroup_processor_mode: 1
amdhsa.target:   amdgcn-amd-amdhsa--gfx1030
amdhsa.version:
  - 1
  - 2
...

	.end_amdgpu_metadata
